;; amdgpu-corpus repo=ROCm/rocFFT kind=compiled arch=gfx906 opt=O3
	.text
	.amdgcn_target "amdgcn-amd-amdhsa--gfx906"
	.amdhsa_code_object_version 6
	.protected	fft_rtc_fwd_len2401_factors_7_7_7_7_wgs_49_tpt_49_halfLds_sp_ip_CI_unitstride_sbrr_dirReg ; -- Begin function fft_rtc_fwd_len2401_factors_7_7_7_7_wgs_49_tpt_49_halfLds_sp_ip_CI_unitstride_sbrr_dirReg
	.globl	fft_rtc_fwd_len2401_factors_7_7_7_7_wgs_49_tpt_49_halfLds_sp_ip_CI_unitstride_sbrr_dirReg
	.p2align	8
	.type	fft_rtc_fwd_len2401_factors_7_7_7_7_wgs_49_tpt_49_halfLds_sp_ip_CI_unitstride_sbrr_dirReg,@function
fft_rtc_fwd_len2401_factors_7_7_7_7_wgs_49_tpt_49_halfLds_sp_ip_CI_unitstride_sbrr_dirReg: ; @fft_rtc_fwd_len2401_factors_7_7_7_7_wgs_49_tpt_49_halfLds_sp_ip_CI_unitstride_sbrr_dirReg
; %bb.0:
	s_load_dwordx2 s[2:3], s[4:5], 0x50
	s_load_dwordx4 s[8:11], s[4:5], 0x0
	s_load_dwordx2 s[12:13], s[4:5], 0x18
	v_mul_u32_u24_e32 v1, 0x53a, v0
	v_add_u32_sdwa v5, s6, v1 dst_sel:DWORD dst_unused:UNUSED_PAD src0_sel:DWORD src1_sel:WORD_1
	v_mov_b32_e32 v3, 0
	s_waitcnt lgkmcnt(0)
	v_cmp_lt_u64_e64 s[0:1], s[10:11], 2
	v_mov_b32_e32 v1, 0
	v_mov_b32_e32 v6, v3
	s_and_b64 vcc, exec, s[0:1]
	v_mov_b32_e32 v2, 0
	s_cbranch_vccnz .LBB0_8
; %bb.1:
	s_load_dwordx2 s[0:1], s[4:5], 0x10
	s_add_u32 s6, s12, 8
	s_addc_u32 s7, s13, 0
	v_mov_b32_e32 v1, 0
	v_mov_b32_e32 v2, 0
	s_waitcnt lgkmcnt(0)
	s_add_u32 s14, s0, 8
	s_addc_u32 s15, s1, 0
	s_mov_b64 s[16:17], 1
.LBB0_2:                                ; =>This Inner Loop Header: Depth=1
	s_load_dwordx2 s[18:19], s[14:15], 0x0
                                        ; implicit-def: $vgpr7_vgpr8
	s_waitcnt lgkmcnt(0)
	v_or_b32_e32 v4, s19, v6
	v_cmp_ne_u64_e32 vcc, 0, v[3:4]
	s_and_saveexec_b64 s[0:1], vcc
	s_xor_b64 s[20:21], exec, s[0:1]
	s_cbranch_execz .LBB0_4
; %bb.3:                                ;   in Loop: Header=BB0_2 Depth=1
	v_cvt_f32_u32_e32 v4, s18
	v_cvt_f32_u32_e32 v7, s19
	s_sub_u32 s0, 0, s18
	s_subb_u32 s1, 0, s19
	v_mac_f32_e32 v4, 0x4f800000, v7
	v_rcp_f32_e32 v4, v4
	v_mul_f32_e32 v4, 0x5f7ffffc, v4
	v_mul_f32_e32 v7, 0x2f800000, v4
	v_trunc_f32_e32 v7, v7
	v_mac_f32_e32 v4, 0xcf800000, v7
	v_cvt_u32_f32_e32 v7, v7
	v_cvt_u32_f32_e32 v4, v4
	v_mul_lo_u32 v8, s0, v7
	v_mul_hi_u32 v9, s0, v4
	v_mul_lo_u32 v11, s1, v4
	v_mul_lo_u32 v10, s0, v4
	v_add_u32_e32 v8, v9, v8
	v_add_u32_e32 v8, v8, v11
	v_mul_hi_u32 v9, v4, v10
	v_mul_lo_u32 v11, v4, v8
	v_mul_hi_u32 v13, v4, v8
	v_mul_hi_u32 v12, v7, v10
	v_mul_lo_u32 v10, v7, v10
	v_mul_hi_u32 v14, v7, v8
	v_add_co_u32_e32 v9, vcc, v9, v11
	v_addc_co_u32_e32 v11, vcc, 0, v13, vcc
	v_mul_lo_u32 v8, v7, v8
	v_add_co_u32_e32 v9, vcc, v9, v10
	v_addc_co_u32_e32 v9, vcc, v11, v12, vcc
	v_addc_co_u32_e32 v10, vcc, 0, v14, vcc
	v_add_co_u32_e32 v8, vcc, v9, v8
	v_addc_co_u32_e32 v9, vcc, 0, v10, vcc
	v_add_co_u32_e32 v4, vcc, v4, v8
	v_addc_co_u32_e32 v7, vcc, v7, v9, vcc
	v_mul_lo_u32 v8, s0, v7
	v_mul_hi_u32 v9, s0, v4
	v_mul_lo_u32 v10, s1, v4
	v_mul_lo_u32 v11, s0, v4
	v_add_u32_e32 v8, v9, v8
	v_add_u32_e32 v8, v8, v10
	v_mul_lo_u32 v12, v4, v8
	v_mul_hi_u32 v13, v4, v11
	v_mul_hi_u32 v14, v4, v8
	;; [unrolled: 1-line block ×3, first 2 shown]
	v_mul_lo_u32 v11, v7, v11
	v_mul_hi_u32 v9, v7, v8
	v_add_co_u32_e32 v12, vcc, v13, v12
	v_addc_co_u32_e32 v13, vcc, 0, v14, vcc
	v_mul_lo_u32 v8, v7, v8
	v_add_co_u32_e32 v11, vcc, v12, v11
	v_addc_co_u32_e32 v10, vcc, v13, v10, vcc
	v_addc_co_u32_e32 v9, vcc, 0, v9, vcc
	v_add_co_u32_e32 v8, vcc, v10, v8
	v_addc_co_u32_e32 v9, vcc, 0, v9, vcc
	v_add_co_u32_e32 v4, vcc, v4, v8
	v_addc_co_u32_e32 v9, vcc, v7, v9, vcc
	v_mad_u64_u32 v[7:8], s[0:1], v5, v9, 0
	v_mul_hi_u32 v10, v5, v4
	v_add_co_u32_e32 v11, vcc, v10, v7
	v_addc_co_u32_e32 v12, vcc, 0, v8, vcc
	v_mad_u64_u32 v[7:8], s[0:1], v6, v4, 0
	v_mad_u64_u32 v[9:10], s[0:1], v6, v9, 0
	v_add_co_u32_e32 v4, vcc, v11, v7
	v_addc_co_u32_e32 v4, vcc, v12, v8, vcc
	v_addc_co_u32_e32 v7, vcc, 0, v10, vcc
	v_add_co_u32_e32 v4, vcc, v4, v9
	v_addc_co_u32_e32 v9, vcc, 0, v7, vcc
	v_mul_lo_u32 v10, s19, v4
	v_mul_lo_u32 v11, s18, v9
	v_mad_u64_u32 v[7:8], s[0:1], s18, v4, 0
	v_add3_u32 v8, v8, v11, v10
	v_sub_u32_e32 v10, v6, v8
	v_mov_b32_e32 v11, s19
	v_sub_co_u32_e32 v7, vcc, v5, v7
	v_subb_co_u32_e64 v10, s[0:1], v10, v11, vcc
	v_subrev_co_u32_e64 v11, s[0:1], s18, v7
	v_subbrev_co_u32_e64 v10, s[0:1], 0, v10, s[0:1]
	v_cmp_le_u32_e64 s[0:1], s19, v10
	v_cndmask_b32_e64 v12, 0, -1, s[0:1]
	v_cmp_le_u32_e64 s[0:1], s18, v11
	v_cndmask_b32_e64 v11, 0, -1, s[0:1]
	v_cmp_eq_u32_e64 s[0:1], s19, v10
	v_cndmask_b32_e64 v10, v12, v11, s[0:1]
	v_add_co_u32_e64 v11, s[0:1], 2, v4
	v_addc_co_u32_e64 v12, s[0:1], 0, v9, s[0:1]
	v_add_co_u32_e64 v13, s[0:1], 1, v4
	v_addc_co_u32_e64 v14, s[0:1], 0, v9, s[0:1]
	v_subb_co_u32_e32 v8, vcc, v6, v8, vcc
	v_cmp_ne_u32_e64 s[0:1], 0, v10
	v_cmp_le_u32_e32 vcc, s19, v8
	v_cndmask_b32_e64 v10, v14, v12, s[0:1]
	v_cndmask_b32_e64 v12, 0, -1, vcc
	v_cmp_le_u32_e32 vcc, s18, v7
	v_cndmask_b32_e64 v7, 0, -1, vcc
	v_cmp_eq_u32_e32 vcc, s19, v8
	v_cndmask_b32_e32 v7, v12, v7, vcc
	v_cmp_ne_u32_e32 vcc, 0, v7
	v_cndmask_b32_e64 v7, v13, v11, s[0:1]
	v_cndmask_b32_e32 v8, v9, v10, vcc
	v_cndmask_b32_e32 v7, v4, v7, vcc
.LBB0_4:                                ;   in Loop: Header=BB0_2 Depth=1
	s_andn2_saveexec_b64 s[0:1], s[20:21]
	s_cbranch_execz .LBB0_6
; %bb.5:                                ;   in Loop: Header=BB0_2 Depth=1
	v_cvt_f32_u32_e32 v4, s18
	s_sub_i32 s20, 0, s18
	v_rcp_iflag_f32_e32 v4, v4
	v_mul_f32_e32 v4, 0x4f7ffffe, v4
	v_cvt_u32_f32_e32 v4, v4
	v_mul_lo_u32 v7, s20, v4
	v_mul_hi_u32 v7, v4, v7
	v_add_u32_e32 v4, v4, v7
	v_mul_hi_u32 v4, v5, v4
	v_mul_lo_u32 v7, v4, s18
	v_add_u32_e32 v8, 1, v4
	v_sub_u32_e32 v7, v5, v7
	v_subrev_u32_e32 v9, s18, v7
	v_cmp_le_u32_e32 vcc, s18, v7
	v_cndmask_b32_e32 v7, v7, v9, vcc
	v_cndmask_b32_e32 v4, v4, v8, vcc
	v_add_u32_e32 v8, 1, v4
	v_cmp_le_u32_e32 vcc, s18, v7
	v_cndmask_b32_e32 v7, v4, v8, vcc
	v_mov_b32_e32 v8, v3
.LBB0_6:                                ;   in Loop: Header=BB0_2 Depth=1
	s_or_b64 exec, exec, s[0:1]
	v_mul_lo_u32 v4, v8, s18
	v_mul_lo_u32 v11, v7, s19
	v_mad_u64_u32 v[9:10], s[0:1], v7, s18, 0
	s_load_dwordx2 s[0:1], s[6:7], 0x0
	s_add_u32 s16, s16, 1
	v_add3_u32 v4, v10, v11, v4
	v_sub_co_u32_e32 v5, vcc, v5, v9
	v_subb_co_u32_e32 v4, vcc, v6, v4, vcc
	s_waitcnt lgkmcnt(0)
	v_mul_lo_u32 v4, s0, v4
	v_mul_lo_u32 v6, s1, v5
	v_mad_u64_u32 v[1:2], s[0:1], s0, v5, v[1:2]
	s_addc_u32 s17, s17, 0
	s_add_u32 s6, s6, 8
	v_add3_u32 v2, v6, v2, v4
	v_mov_b32_e32 v4, s10
	v_mov_b32_e32 v5, s11
	s_addc_u32 s7, s7, 0
	v_cmp_ge_u64_e32 vcc, s[16:17], v[4:5]
	s_add_u32 s14, s14, 8
	s_addc_u32 s15, s15, 0
	s_cbranch_vccnz .LBB0_9
; %bb.7:                                ;   in Loop: Header=BB0_2 Depth=1
	v_mov_b32_e32 v5, v7
	v_mov_b32_e32 v6, v8
	s_branch .LBB0_2
.LBB0_8:
	v_mov_b32_e32 v8, v6
	v_mov_b32_e32 v7, v5
.LBB0_9:
	s_lshl_b64 s[0:1], s[10:11], 3
	s_add_u32 s0, s12, s0
	s_addc_u32 s1, s13, s1
	s_load_dwordx2 s[6:7], s[0:1], 0x0
	s_load_dwordx2 s[10:11], s[4:5], 0x20
	v_mov_b32_e32 v91, 0
	v_mov_b32_e32 v92, 0
	;; [unrolled: 1-line block ×3, first 2 shown]
	s_waitcnt lgkmcnt(0)
	v_mad_u64_u32 v[1:2], s[0:1], s6, v7, v[1:2]
	v_mul_lo_u32 v3, s6, v8
	v_mul_lo_u32 v4, s7, v7
	s_mov_b32 s0, 0x539782a
	v_mul_hi_u32 v5, v0, s0
	v_cmp_gt_u64_e64 s[0:1], s[10:11], v[7:8]
	v_add3_u32 v2, v4, v2, v3
	v_lshlrev_b64 v[18:19], 3, v[1:2]
	v_mul_u32_u24_e32 v3, 49, v5
	v_mov_b32_e32 v94, v92
	v_mov_b32_e32 v61, v91
	;; [unrolled: 1-line block ×26, first 2 shown]
	v_sub_u32_e32 v16, v0, v3
	v_mov_b32_e32 v97, v91
	v_mov_b32_e32 v93, v91
	v_mov_b32_e32 v62, v92
	v_mov_b32_e32 v82, v92
	v_mov_b32_e32 v88, v92
	v_mov_b32_e32 v80, v92
	v_mov_b32_e32 v76, v92
	v_mov_b32_e32 v70, v92
	v_mov_b32_e32 v72, v92
	v_mov_b32_e32 v68, v92
	v_mov_b32_e32 v60, v92
	v_mov_b32_e32 v43, v92
	v_mov_b32_e32 v49, v92
	v_mov_b32_e32 v41, v92
	v_mov_b32_e32 v58, v92
	v_mov_b32_e32 v33, v92
	v_mov_b32_e32 v35, v92
	v_mov_b32_e32 v39, v92
	v_mov_b32_e32 v56, v92
	v_mov_b32_e32 v23, v92
	v_mov_b32_e32 v25, v92
	v_mov_b32_e32 v27, v92
	v_mov_b32_e32 v54, v92
	v_mov_b32_e32 v7, v92
	v_mov_b32_e32 v9, v92
	v_mov_b32_e32 v11, v92
	v_mov_b32_e32 v52, v92
                                        ; implicit-def: $vgpr5
                                        ; implicit-def: $vgpr3
                                        ; implicit-def: $vgpr1
                                        ; implicit-def: $vgpr21
                                        ; implicit-def: $vgpr15
                                        ; implicit-def: $vgpr13
                                        ; implicit-def: $vgpr37
                                        ; implicit-def: $vgpr31
                                        ; implicit-def: $vgpr29
                                        ; implicit-def: $vgpr66
                                        ; implicit-def: $vgpr47
                                        ; implicit-def: $vgpr45
                                        ; implicit-def: $vgpr78
                                        ; implicit-def: $vgpr74
                                        ; implicit-def: $vgpr64
                                        ; implicit-def: $vgpr90
                                        ; implicit-def: $vgpr86
                                        ; implicit-def: $vgpr84
                                        ; implicit-def: $vgpr102
                                        ; implicit-def: $vgpr100
                                        ; implicit-def: $vgpr96
	s_and_saveexec_b64 s[4:5], s[0:1]
	s_cbranch_execz .LBB0_11
; %bb.10:
	v_mov_b32_e32 v17, 0
	v_mov_b32_e32 v0, s3
	v_add_co_u32_e32 v2, vcc, s2, v18
	v_addc_co_u32_e32 v3, vcc, v0, v19, vcc
	v_lshlrev_b64 v[0:1], 3, v[16:17]
	v_add_co_u32_e32 v0, vcc, v2, v0
	v_addc_co_u32_e32 v1, vcc, v3, v1, vcc
	v_add_co_u32_e32 v2, vcc, 0x1000, v0
	v_addc_co_u32_e32 v3, vcc, 0, v1, vcc
	;; [unrolled: 2-line block ×5, first 2 shown]
	global_load_dwordx2 v[63:64], v[4:5], off offset:824
	global_load_dwordx2 v[61:62], v[0:1], off
	global_load_dwordx2 v[75:76], v[0:1], off offset:392
	global_load_dwordx2 v[59:60], v[0:1], off offset:784
	;; [unrolled: 1-line block ×28, first 2 shown]
                                        ; kill: killed $vgpr0 killed $vgpr1
                                        ; kill: killed $vgpr2 killed $vgpr3
	global_load_dwordx2 v[12:13], v[4:5], off offset:2000
	global_load_dwordx2 v[0:1], v[4:5], off offset:2392
	;; [unrolled: 1-line block ×15, first 2 shown]
                                        ; kill: killed $vgpr20 killed $vgpr21
                                        ; kill: killed $vgpr4 killed $vgpr5
	global_load_dwordx2 v[65:66], v[103:104], off offset:1256
	global_load_dwordx2 v[36:37], v[103:104], off offset:1648
	;; [unrolled: 1-line block ×4, first 2 shown]
.LBB0_11:
	s_or_b64 exec, exec, s[4:5]
	s_waitcnt vmcnt(5)
	v_add_f32_e32 v17, v101, v91
	v_sub_f32_e32 v91, v91, v101
	v_add_f32_e32 v101, v99, v97
	v_add_f32_e32 v104, v102, v92
	v_sub_f32_e32 v50, v92, v102
	v_add_f32_e32 v105, v100, v98
	v_sub_f32_e32 v92, v97, v99
	v_sub_f32_e32 v97, v98, v100
	v_add_f32_e32 v98, v95, v93
	v_add_f32_e32 v106, v96, v94
	v_sub_f32_e32 v93, v93, v95
	v_sub_f32_e32 v94, v94, v96
	v_add_f32_e32 v95, v17, v101
	v_sub_f32_e32 v96, v101, v17
	v_sub_f32_e32 v99, v17, v98
	v_add_f32_e32 v17, v97, v94
	v_add_f32_e32 v95, v95, v98
	v_sub_f32_e32 v100, v98, v101
	v_sub_f32_e32 v101, v94, v97
	;; [unrolled: 1-line block ×4, first 2 shown]
	v_add_f32_e32 v50, v50, v17
	v_add_f32_e32 v17, v95, v61
	v_mul_f32_e32 v61, 0x3f4a47b2, v99
	v_mul_f32_e32 v98, 0x3d64c772, v100
	;; [unrolled: 1-line block ×3, first 2 shown]
	s_mov_b32 s4, 0x3f5ff5aa
	v_mul_f32_e32 v101, 0x3f5ff5aa, v97
	v_mov_b32_e32 v102, v17
	s_mov_b32 s5, 0x3f3bfb3b
	s_mov_b32 s6, 0xbf3bfb3b
	;; [unrolled: 1-line block ×3, first 2 shown]
	v_fmac_f32_e32 v102, 0xbf955555, v95
	v_fma_f32 v95, v96, s5, -v98
	v_fma_f32 v61, v96, s6, -v61
	;; [unrolled: 1-line block ×3, first 2 shown]
	v_fmac_f32_e32 v100, 0x3eae86e6, v94
	v_fma_f32 v94, v94, s7, -v101
	v_fmac_f32_e32 v98, 0x3f4a47b2, v99
	v_add_f32_e32 v99, v61, v102
	v_fmac_f32_e32 v94, 0x3ee1c552, v50
	v_add_f32_e32 v95, v95, v102
	;; [unrolled: 2-line block ×3, first 2 shown]
	v_sub_f32_e32 v99, v99, v94
	v_add_f32_e32 v94, v89, v81
	v_sub_f32_e32 v89, v81, v89
	v_add_f32_e32 v81, v85, v87
	v_add_f32_e32 v101, v98, v102
	v_fmac_f32_e32 v100, 0x3ee1c552, v50
	v_sub_f32_e32 v97, v95, v96
	v_add_f32_e32 v98, v95, v96
	v_add_f32_e32 v95, v90, v82
	v_sub_f32_e32 v90, v82, v90
	v_add_f32_e32 v82, v86, v88
	v_sub_f32_e32 v85, v87, v85
	v_sub_f32_e32 v86, v88, v86
	v_add_f32_e32 v87, v83, v79
	v_add_f32_e32 v88, v84, v80
	v_sub_f32_e32 v83, v79, v83
	v_add_f32_e32 v96, v94, v81
	v_add_f32_e32 v50, v101, v100
	v_sub_f32_e32 v100, v101, v100
	v_sub_f32_e32 v84, v80, v84
	v_add_f32_e32 v101, v95, v82
	v_sub_f32_e32 v102, v81, v94
	v_sub_f32_e32 v79, v82, v95
	v_sub_f32_e32 v80, v95, v88
	v_sub_f32_e32 v95, v87, v81
	v_sub_f32_e32 v103, v88, v82
	v_add_f32_e32 v82, v85, v83
	v_sub_f32_e32 v108, v83, v85
	v_sub_f32_e32 v81, v89, v83
	;; [unrolled: 1-line block ×3, first 2 shown]
	v_add_f32_e32 v85, v96, v87
	v_add_f32_e32 v107, v86, v84
	v_sub_f32_e32 v110, v84, v86
	v_sub_f32_e32 v112, v86, v90
	v_add_f32_e32 v86, v101, v88
	v_add_f32_e32 v75, v85, v75
	v_sub_f32_e32 v94, v94, v87
	v_add_f32_e32 v109, v86, v76
	v_mov_b32_e32 v101, v75
	v_sub_f32_e32 v111, v90, v84
	v_add_f32_e32 v82, v89, v82
	v_mul_f32_e32 v76, 0x3f4a47b2, v94
	v_mul_f32_e32 v88, 0x3d64c772, v95
	;; [unrolled: 1-line block ×4, first 2 shown]
	v_fmac_f32_e32 v101, 0xbf955555, v85
	v_mov_b32_e32 v85, v109
	v_add_f32_e32 v87, v90, v107
	v_mul_f32_e32 v96, 0x3f5ff5aa, v112
	v_fmac_f32_e32 v85, 0xbf955555, v86
	v_fma_f32 v103, v102, s5, -v88
	v_fmac_f32_e32 v88, 0x3f4a47b2, v94
	v_fma_f32 v86, v79, s5, -v89
	;; [unrolled: 2-line block ×3, first 2 shown]
	v_fma_f32 v102, v112, s4, -v95
	v_fmac_f32_e32 v95, 0x3eae86e6, v111
	v_fma_f32 v96, v111, s7, -v96
	v_add_f32_e32 v88, v88, v101
	v_add_f32_e32 v94, v89, v85
	;; [unrolled: 1-line block ×3, first 2 shown]
	v_fmac_f32_e32 v95, 0x3ee1c552, v87
	v_fmac_f32_e32 v102, 0x3ee1c552, v87
	v_add_f32_e32 v76, v76, v101
	v_fmac_f32_e32 v96, 0x3ee1c552, v87
	v_add_f32_e32 v87, v88, v95
	v_sub_f32_e32 v103, v89, v102
	v_add_f32_e32 v89, v89, v102
	v_sub_f32_e32 v88, v88, v95
	s_waitcnt vmcnt(4)
	v_add_f32_e32 v102, v77, v69
	v_add_f32_e32 v95, v78, v70
	v_sub_f32_e32 v77, v69, v77
	v_sub_f32_e32 v69, v70, v78
	v_add_f32_e32 v70, v73, v71
	v_mul_f32_e32 v84, 0xbf08b237, v108
	v_add_f32_e32 v101, v76, v96
	v_sub_f32_e32 v76, v76, v96
	v_add_f32_e32 v96, v74, v72
	v_sub_f32_e32 v78, v71, v73
	v_sub_f32_e32 v71, v72, v74
	v_add_f32_e32 v72, v63, v67
	v_add_f32_e32 v108, v64, v68
	v_sub_f32_e32 v107, v67, v63
	v_sub_f32_e32 v63, v68, v64
	v_add_f32_e32 v64, v102, v70
	;; [unrolled: 4-line block ×3, first 2 shown]
	v_sub_f32_e32 v74, v63, v71
	v_add_f32_e32 v59, v64, v59
	v_sub_f32_e32 v68, v102, v72
	v_sub_f32_e32 v63, v69, v63
	;; [unrolled: 1-line block ×3, first 2 shown]
	v_add_f32_e32 v69, v69, v73
	v_mul_f32_e32 v70, 0x3d64c772, v70
	v_mul_f32_e32 v73, 0xbf08b237, v74
	v_mov_b32_e32 v102, v59
	v_mul_f32_e32 v72, 0x3f4a47b2, v68
	v_fmac_f32_e32 v102, 0xbf955555, v64
	v_fma_f32 v64, v67, s5, -v70
	v_fmac_f32_e32 v70, 0x3f4a47b2, v68
	v_fma_f32 v68, v71, s4, -v73
	v_add_f32_e32 v64, v64, v102
	v_fmac_f32_e32 v68, 0x3ee1c552, v69
	v_fma_f32 v67, v67, s6, -v72
	v_sub_f32_e32 v72, v64, v68
	v_add_f32_e32 v64, v64, v68
	s_waitcnt vmcnt(3)
	v_add_f32_e32 v68, v65, v42
	v_add_f32_e32 v112, v66, v43
	v_sub_f32_e32 v110, v42, v65
	v_sub_f32_e32 v42, v43, v66
	v_add_f32_e32 v43, v46, v48
	v_add_f32_e32 v113, v47, v49
	v_sub_f32_e32 v111, v48, v46
	v_sub_f32_e32 v46, v49, v47
	;; [unrolled: 4-line block ×4, first 2 shown]
	v_sub_f32_e32 v43, v47, v43
	v_add_f32_e32 v48, v46, v40
	v_sub_f32_e32 v49, v40, v46
	v_sub_f32_e32 v46, v46, v42
	v_add_f32_e32 v47, v41, v57
	v_sub_f32_e32 v40, v42, v40
	v_add_f32_e32 v42, v42, v48
	v_mul_f32_e32 v48, 0x3f4a47b2, v45
	v_mul_f32_e32 v43, 0x3d64c772, v43
	;; [unrolled: 1-line block ×4, first 2 shown]
	v_mov_b32_e32 v65, v47
	v_fmac_f32_e32 v65, 0xbf955555, v41
	v_fma_f32 v41, v44, s5, -v43
	v_fmac_f32_e32 v43, 0x3f4a47b2, v45
	v_fma_f32 v44, v44, s6, -v48
	v_fma_f32 v45, v46, s4, -v49
	v_fmac_f32_e32 v49, 0x3eae86e6, v40
	v_fma_f32 v40, v40, s7, -v57
	v_add_f32_e32 v44, v44, v65
	v_fmac_f32_e32 v40, 0x3ee1c552, v42
	v_add_f32_e32 v46, v44, v40
	v_sub_f32_e32 v40, v44, v40
	s_waitcnt vmcnt(2)
	v_add_f32_e32 v44, v36, v32
	v_add_f32_e32 v120, v37, v33
	v_sub_f32_e32 v116, v32, v36
	v_sub_f32_e32 v32, v33, v37
	v_add_f32_e32 v33, v30, v34
	v_add_f32_e32 v121, v31, v35
	v_sub_f32_e32 v119, v34, v30
	v_sub_f32_e32 v30, v35, v31
	;; [unrolled: 4-line block ×3, first 2 shown]
	v_add_f32_e32 v29, v44, v33
	v_add_f32_e32 v36, v30, v28
	;; [unrolled: 1-line block ×3, first 2 shown]
	v_sub_f32_e32 v34, v33, v44
	v_sub_f32_e32 v35, v44, v31
	;; [unrolled: 1-line block ×6, first 2 shown]
	v_add_f32_e32 v31, v32, v36
	v_add_f32_e32 v32, v29, v55
	v_mul_f32_e32 v33, 0x3d64c772, v33
	v_mul_f32_e32 v37, 0xbf08b237, v37
	v_mov_b32_e32 v39, v32
	v_mul_f32_e32 v38, 0x3f5ff5aa, v30
	v_fmac_f32_e32 v39, 0xbf955555, v29
	v_fma_f32 v29, v34, s5, -v33
	v_fmac_f32_e32 v33, 0x3f4a47b2, v35
	v_fma_f32 v30, v30, s4, -v37
	v_fmac_f32_e32 v37, 0x3eae86e6, v28
	v_mul_f32_e32 v36, 0x3f4a47b2, v35
	v_fma_f32 v28, v28, s7, -v38
	v_add_f32_e32 v33, v33, v39
	v_add_f32_e32 v29, v29, v39
	v_fmac_f32_e32 v37, 0x3ee1c552, v31
	v_fmac_f32_e32 v30, 0x3ee1c552, v31
	v_fma_f32 v34, v34, s6, -v36
	v_fmac_f32_e32 v28, 0x3ee1c552, v31
	v_add_f32_e32 v31, v33, v37
	v_sub_f32_e32 v36, v29, v30
	v_add_f32_e32 v29, v29, v30
	v_sub_f32_e32 v30, v33, v37
	s_waitcnt vmcnt(1)
	v_add_f32_e32 v33, v20, v22
	v_add_f32_e32 v124, v21, v23
	v_sub_f32_e32 v125, v22, v20
	v_sub_f32_e32 v20, v23, v21
	v_add_f32_e32 v21, v14, v24
	v_add_f32_e32 v126, v15, v25
	v_sub_f32_e32 v127, v24, v14
	v_sub_f32_e32 v14, v25, v15
	v_add_f32_e32 v15, v12, v26
	v_add_f32_e32 v128, v13, v27
	v_sub_f32_e32 v129, v26, v12
	v_sub_f32_e32 v12, v27, v13
	v_add_f32_e32 v13, v33, v21
	v_add_f32_e32 v24, v14, v12
	;; [unrolled: 1-line block ×3, first 2 shown]
	v_sub_f32_e32 v22, v21, v33
	v_sub_f32_e32 v23, v33, v15
	;; [unrolled: 1-line block ×6, first 2 shown]
	v_add_f32_e32 v15, v20, v24
	v_add_f32_e32 v20, v13, v53
	v_mul_f32_e32 v21, 0x3d64c772, v21
	v_mul_f32_e32 v25, 0xbf08b237, v25
	v_mov_b32_e32 v27, v20
	v_mul_f32_e32 v26, 0x3f5ff5aa, v14
	v_fmac_f32_e32 v27, 0xbf955555, v13
	v_fma_f32 v13, v22, s5, -v21
	v_fmac_f32_e32 v21, 0x3f4a47b2, v23
	v_fma_f32 v14, v14, s4, -v25
	v_fmac_f32_e32 v25, 0x3eae86e6, v12
	v_mul_f32_e32 v24, 0x3f4a47b2, v23
	v_fma_f32 v12, v12, s7, -v26
	v_add_f32_e32 v21, v21, v27
	v_add_f32_e32 v13, v13, v27
	v_fmac_f32_e32 v25, 0x3ee1c552, v15
	v_fmac_f32_e32 v14, 0x3ee1c552, v15
	v_fma_f32 v22, v22, s6, -v24
	v_fmac_f32_e32 v12, 0x3ee1c552, v15
	v_add_f32_e32 v15, v21, v25
	v_sub_f32_e32 v24, v13, v14
	v_add_f32_e32 v13, v13, v14
	v_sub_f32_e32 v14, v21, v25
	s_waitcnt vmcnt(0)
	v_add_f32_e32 v21, v4, v6
	v_add_f32_e32 v130, v5, v7
	v_sub_f32_e32 v131, v6, v4
	v_sub_f32_e32 v4, v7, v5
	v_add_f32_e32 v5, v2, v8
	v_add_f32_e32 v132, v3, v9
	v_sub_f32_e32 v133, v8, v2
	v_sub_f32_e32 v2, v9, v3
	;; [unrolled: 4-line block ×3, first 2 shown]
	v_add_f32_e32 v1, v21, v5
	v_add_f32_e32 v8, v2, v0
	;; [unrolled: 1-line block ×3, first 2 shown]
	v_mul_f32_e32 v74, 0x3f5ff5aa, v71
	v_fmac_f32_e32 v73, 0x3eae86e6, v63
	v_sub_f32_e32 v6, v5, v21
	v_sub_f32_e32 v7, v21, v3
	;; [unrolled: 1-line block ×6, first 2 shown]
	v_add_f32_e32 v3, v4, v8
	v_add_f32_e32 v4, v1, v51
	v_fma_f32 v63, v63, s7, -v74
	v_add_f32_e32 v70, v70, v102
	v_fmac_f32_e32 v73, 0x3ee1c552, v69
	v_mul_f32_e32 v8, 0x3f4a47b2, v7
	v_mul_f32_e32 v5, 0x3d64c772, v5
	;; [unrolled: 1-line block ×4, first 2 shown]
	v_mov_b32_e32 v11, v4
	v_mad_u32_u24 v53, v16, 28, 0
	v_fma_f32 v90, v83, s4, -v84
	v_fmac_f32_e32 v84, 0x3eae86e6, v81
	v_add_f32_e32 v67, v67, v102
	v_fmac_f32_e32 v63, 0x3ee1c552, v69
	v_add_f32_e32 v69, v70, v73
	v_fmac_f32_e32 v11, 0xbf955555, v1
	v_fma_f32 v1, v6, s5, -v5
	v_fmac_f32_e32 v5, 0x3f4a47b2, v7
	v_fma_f32 v6, v6, s6, -v8
	v_fma_f32 v2, v2, s4, -v9
	v_fmac_f32_e32 v9, 0x3eae86e6, v0
	v_fma_f32 v0, v0, s7, -v10
	v_add_u32_e32 v136, 0x55c, v53
	v_add_u32_e32 v118, 0x564, v53
	;; [unrolled: 1-line block ×4, first 2 shown]
	v_fmac_f32_e32 v84, 0x3ee1c552, v82
	v_add_f32_e32 v71, v67, v63
	v_sub_f32_e32 v63, v67, v63
	v_sub_f32_e32 v67, v70, v73
	v_add_f32_e32 v43, v43, v65
	v_add_f32_e32 v41, v41, v65
	v_fmac_f32_e32 v49, 0x3ee1c552, v42
	v_fmac_f32_e32 v45, 0x3ee1c552, v42
	v_add_f32_e32 v34, v34, v39
	v_add_f32_e32 v22, v22, v27
	;; [unrolled: 1-line block ×5, first 2 shown]
	v_fmac_f32_e32 v9, 0x3ee1c552, v3
	v_fmac_f32_e32 v2, 0x3ee1c552, v3
	;; [unrolled: 1-line block ×3, first 2 shown]
	ds_write2_b32 v53, v17, v50 offset1:1
	ds_write2_b32 v53, v61, v97 offset0:2 offset1:3
	ds_write2_b32 v53, v98, v99 offset0:4 offset1:5
	ds_write_b32 v53, v100 offset:24
	ds_write2_b32 v136, v75, v87 offset1:1
	ds_write2_b32 v118, v101, v103 offset1:1
	;; [unrolled: 1-line block ×3, first 2 shown]
	ds_write_b32 v53, v88 offset:1396
	ds_write2_b32 v55, v59, v69 offset1:1
	v_add_u32_e32 v57, 0xac0, v53
	v_add_u32_e32 v59, 0xac8, v53
	v_lshl_add_u32 v17, v16, 2, 0
	v_add_f32_e32 v42, v43, v49
	v_sub_f32_e32 v48, v41, v45
	v_add_f32_e32 v41, v41, v45
	v_sub_f32_e32 v43, v43, v49
	;; [unrolled: 2-line block ×4, first 2 shown]
	v_add_f32_e32 v3, v5, v9
	v_add_f32_e32 v7, v6, v0
	v_sub_f32_e32 v8, v1, v2
	v_add_f32_e32 v1, v1, v2
	v_sub_f32_e32 v0, v6, v0
	v_sub_f32_e32 v2, v5, v9
	ds_write2_b32 v57, v71, v72 offset1:1
	ds_write2_b32 v59, v64, v63 offset1:1
	ds_write_b32 v53, v67 offset:2768
	v_add_u32_e32 v63, 0x1014, v53
	v_add_u32_e32 v64, 0x101c, v53
	;; [unrolled: 1-line block ×22, first 2 shown]
	v_sub_f32_e32 v137, v94, v84
	ds_write2_b32 v63, v47, v42 offset1:1
	ds_write2_b32 v64, v46, v48 offset1:1
	;; [unrolled: 1-line block ×3, first 2 shown]
	ds_write_b32 v53, v43 offset:4140
	ds_write2_b32 v66, v32, v31 offset1:1
	ds_write2_b32 v67, v35, v36 offset1:1
	;; [unrolled: 1-line block ×3, first 2 shown]
	ds_write_b32 v53, v30 offset:5512
	ds_write_b32 v53, v20 offset:6860
	ds_write2_b32 v69, v15, v23 offset1:1
	ds_write2_b32 v70, v24, v13 offset1:1
	;; [unrolled: 1-line block ×3, first 2 shown]
	ds_write_b32 v53, v4 offset:8232
	ds_write2_b32 v72, v3, v7 offset1:1
	ds_write2_b32 v75, v8, v1 offset1:1
	;; [unrolled: 1-line block ×3, first 2 shown]
	s_waitcnt lgkmcnt(0)
	; wave barrier
	s_waitcnt lgkmcnt(0)
	ds_read2_b32 v[6:7], v17 offset1:49
	ds_read2_b32 v[0:1], v100 offset0:38 offset1:87
	ds_read2_b32 v[8:9], v97 offset0:174 offset1:223
	;; [unrolled: 1-line block ×14, first 2 shown]
	v_add_u32_e32 v89, 0x1c00, v17
	v_add_u32_e32 v74, 0x1200, v17
	ds_read_b32 v61, v17 offset:9408
	ds_read2_b32 v[34:35], v102 offset0:152 offset1:201
	ds_read2_b32 v[50:51], v89 offset0:70 offset1:119
	;; [unrolled: 1-line block ×9, first 2 shown]
	s_waitcnt lgkmcnt(0)
	; wave barrier
	s_waitcnt lgkmcnt(0)
	ds_write2_b32 v136, v109, v137 offset1:1
	v_add_f32_e32 v109, v104, v105
	v_sub_f32_e32 v136, v105, v104
	v_sub_f32_e32 v104, v104, v106
	;; [unrolled: 1-line block ×3, first 2 shown]
	v_add_f32_e32 v106, v109, v106
	v_add_f32_e32 v109, v92, v93
	;; [unrolled: 1-line block ×3, first 2 shown]
	v_sub_f32_e32 v137, v93, v92
	v_sub_f32_e32 v93, v91, v93
	;; [unrolled: 1-line block ×3, first 2 shown]
	v_add_f32_e32 v91, v91, v109
	v_mov_b32_e32 v109, v62
	v_fmac_f32_e32 v109, 0xbf955555, v106
	v_mul_f32_e32 v105, 0x3d64c772, v105
	v_mul_f32_e32 v106, 0xbf08b237, v137
	v_fma_f32 v137, v136, s5, -v105
	v_fmac_f32_e32 v105, 0x3f4a47b2, v104
	v_fma_f32 v138, v92, s4, -v106
	v_fmac_f32_e32 v106, 0x3eae86e6, v93
	v_add_f32_e32 v105, v105, v109
	v_fmac_f32_e32 v106, 0x3ee1c552, v91
	v_sub_f32_e32 v139, v105, v106
	ds_write2_b32 v53, v62, v139 offset1:1
	v_mul_f32_e32 v62, 0x3f4a47b2, v104
	v_mul_f32_e32 v92, 0x3f5ff5aa, v92
	v_fma_f32 v62, v136, s6, -v62
	v_fma_f32 v92, v93, s7, -v92
	v_add_f32_e32 v93, v137, v109
	v_add_f32_e32 v62, v62, v109
	v_fmac_f32_e32 v138, 0x3ee1c552, v91
	v_fmac_f32_e32 v92, 0x3ee1c552, v91
	v_sub_f32_e32 v91, v62, v92
	v_add_f32_e32 v104, v138, v93
	ds_write2_b32 v53, v91, v104 offset0:2 offset1:3
	v_sub_f32_e32 v91, v93, v138
	v_add_f32_e32 v62, v92, v62
	ds_write2_b32 v53, v91, v62 offset0:4 offset1:5
	v_mul_f32_e32 v62, 0x3f4a47b2, v80
	v_fma_f32 v62, v79, s6, -v62
	v_mul_f32_e32 v79, 0x3f5ff5aa, v83
	v_fma_f32 v79, v81, s7, -v79
	v_add_f32_e32 v62, v62, v85
	v_fmac_f32_e32 v79, 0x3ee1c552, v82
	v_add_f32_e32 v92, v106, v105
	v_sub_f32_e32 v105, v62, v79
	v_add_f32_e32 v106, v79, v62
	v_add_f32_e32 v79, v95, v96
	;; [unrolled: 1-line block ×6, first 2 shown]
	v_fmac_f32_e32 v90, 0x3ee1c552, v82
	v_add_f32_e32 v62, v84, v94
	v_sub_f32_e32 v82, v108, v96
	v_sub_f32_e32 v84, v107, v78
	;; [unrolled: 1-line block ×4, first 2 shown]
	v_add_f32_e32 v77, v77, v83
	v_mov_b32_e32 v83, v60
	v_add_f32_e32 v93, v90, v80
	v_sub_f32_e32 v104, v80, v90
	v_sub_f32_e32 v80, v96, v95
	;; [unrolled: 1-line block ×3, first 2 shown]
	v_fmac_f32_e32 v83, 0xbf955555, v79
	v_mul_f32_e32 v79, 0x3d64c772, v82
	v_fma_f32 v82, v80, s5, -v79
	v_fmac_f32_e32 v79, 0x3f4a47b2, v81
	v_mul_f32_e32 v81, 0x3f4a47b2, v81
	v_fma_f32 v80, v80, s6, -v81
	v_mul_f32_e32 v81, 0xbf08b237, v84
	v_mul_f32_e32 v84, 0x3f5ff5aa, v78
	v_fma_f32 v78, v78, s4, -v81
	v_fmac_f32_e32 v81, 0x3eae86e6, v85
	v_fma_f32 v84, v85, s7, -v84
	v_add_f32_e32 v85, v79, v83
	v_add_f32_e32 v79, v82, v83
	;; [unrolled: 1-line block ×6, first 2 shown]
	v_fmac_f32_e32 v81, 0x3ee1c552, v77
	v_fmac_f32_e32 v78, 0x3ee1c552, v77
	v_fmac_f32_e32 v84, 0x3ee1c552, v77
	v_sub_f32_e32 v86, v115, v113
	v_mov_b32_e32 v96, v58
	v_add_f32_e32 v77, v78, v79
	v_sub_f32_e32 v78, v79, v78
	v_sub_f32_e32 v79, v80, v84
	v_add_f32_e32 v80, v84, v80
	v_sub_f32_e32 v82, v85, v81
	v_add_f32_e32 v81, v81, v85
	v_sub_f32_e32 v84, v113, v112
	v_sub_f32_e32 v85, v112, v115
	v_fmac_f32_e32 v96, 0xbf955555, v83
	v_mul_f32_e32 v83, 0x3d64c772, v86
	v_sub_f32_e32 v91, v114, v111
	v_sub_f32_e32 v95, v111, v110
	v_fma_f32 v86, v84, s5, -v83
	v_fmac_f32_e32 v83, 0x3f4a47b2, v85
	v_mul_f32_e32 v85, 0x3f4a47b2, v85
	v_add_f32_e32 v90, v111, v114
	v_sub_f32_e32 v94, v110, v114
	v_fma_f32 v84, v84, s6, -v85
	v_mul_f32_e32 v107, 0xbf08b237, v91
	v_mul_f32_e32 v85, 0x3f5ff5aa, v95
	v_add_f32_e32 v90, v110, v90
	v_fma_f32 v91, v95, s4, -v107
	v_fmac_f32_e32 v107, 0x3eae86e6, v94
	v_fma_f32 v94, v94, s7, -v85
	v_add_f32_e32 v85, v86, v96
	v_add_f32_e32 v86, v84, v96
	v_fmac_f32_e32 v91, 0x3ee1c552, v90
	v_fmac_f32_e32 v94, 0x3ee1c552, v90
	v_add_f32_e32 v95, v83, v96
	v_add_f32_e32 v83, v91, v85
	v_sub_f32_e32 v84, v85, v91
	v_sub_f32_e32 v85, v86, v94
	v_add_f32_e32 v86, v94, v86
	v_add_f32_e32 v94, v120, v121
	;; [unrolled: 1-line block ×3, first 2 shown]
	v_fmac_f32_e32 v107, 0x3ee1c552, v90
	v_add_f32_e32 v56, v94, v56
	v_sub_f32_e32 v91, v95, v107
	v_add_f32_e32 v90, v107, v95
	v_sub_f32_e32 v107, v123, v121
	v_mov_b32_e32 v112, v56
	v_sub_f32_e32 v95, v121, v120
	v_sub_f32_e32 v96, v120, v123
	v_fmac_f32_e32 v112, 0xbf955555, v94
	v_mul_f32_e32 v94, 0x3d64c772, v107
	v_sub_f32_e32 v109, v122, v119
	v_sub_f32_e32 v111, v119, v116
	v_fma_f32 v107, v95, s5, -v94
	v_fmac_f32_e32 v94, 0x3f4a47b2, v96
	v_mul_f32_e32 v96, 0x3f4a47b2, v96
	v_add_f32_e32 v108, v119, v122
	v_sub_f32_e32 v110, v116, v122
	v_fma_f32 v95, v95, s6, -v96
	v_mul_f32_e32 v96, 0xbf08b237, v109
	v_mul_f32_e32 v109, 0x3f5ff5aa, v111
	v_add_f32_e32 v108, v116, v108
	v_fma_f32 v109, v110, s7, -v109
	v_add_f32_e32 v95, v95, v112
	v_fmac_f32_e32 v109, 0x3ee1c552, v108
	v_fma_f32 v111, v111, s4, -v96
	v_fmac_f32_e32 v96, 0x3eae86e6, v110
	v_sub_f32_e32 v110, v95, v109
	v_add_f32_e32 v109, v109, v95
	v_add_f32_e32 v95, v124, v126
	;; [unrolled: 1-line block ×6, first 2 shown]
	v_fmac_f32_e32 v96, 0x3ee1c552, v108
	v_fmac_f32_e32 v111, 0x3ee1c552, v108
	v_sub_f32_e32 v113, v128, v126
	v_mov_b32_e32 v120, v54
	v_add_f32_e32 v108, v111, v107
	v_sub_f32_e32 v107, v107, v111
	v_sub_f32_e32 v111, v94, v96
	v_add_f32_e32 v94, v96, v94
	v_sub_f32_e32 v96, v126, v124
	v_sub_f32_e32 v112, v124, v128
	v_fmac_f32_e32 v120, 0xbf955555, v95
	v_mul_f32_e32 v95, 0x3d64c772, v113
	v_sub_f32_e32 v115, v129, v127
	v_fma_f32 v113, v96, s5, -v95
	v_fmac_f32_e32 v95, 0x3f4a47b2, v112
	v_mul_f32_e32 v112, 0x3f4a47b2, v112
	v_add_f32_e32 v114, v127, v129
	v_sub_f32_e32 v116, v125, v129
	v_sub_f32_e32 v119, v127, v125
	v_fma_f32 v96, v96, s6, -v112
	v_mul_f32_e32 v112, 0xbf08b237, v115
	v_add_f32_e32 v114, v125, v114
	v_mul_f32_e32 v115, 0x3f5ff5aa, v119
	v_fma_f32 v119, v119, s4, -v112
	v_fmac_f32_e32 v112, 0x3eae86e6, v116
	v_fma_f32 v115, v116, s7, -v115
	v_add_f32_e32 v95, v95, v120
	v_add_f32_e32 v113, v113, v120
	v_fmac_f32_e32 v112, 0x3ee1c552, v114
	v_fmac_f32_e32 v119, 0x3ee1c552, v114
	;; [unrolled: 1-line block ×3, first 2 shown]
	v_add_f32_e32 v114, v119, v113
	v_sub_f32_e32 v113, v113, v119
	v_sub_f32_e32 v119, v95, v112
	v_add_f32_e32 v112, v112, v95
	v_add_f32_e32 v95, v130, v132
	;; [unrolled: 1-line block ×5, first 2 shown]
	v_sub_f32_e32 v121, v134, v132
	v_mov_b32_e32 v126, v52
	v_sub_f32_e32 v116, v96, v115
	v_add_f32_e32 v115, v115, v96
	v_sub_f32_e32 v96, v132, v130
	v_sub_f32_e32 v120, v130, v134
	v_fmac_f32_e32 v126, 0xbf955555, v95
	v_mul_f32_e32 v95, 0x3d64c772, v121
	v_sub_f32_e32 v123, v135, v133
	v_sub_f32_e32 v125, v133, v131
	v_fma_f32 v121, v96, s5, -v95
	v_fmac_f32_e32 v95, 0x3f4a47b2, v120
	v_mul_f32_e32 v120, 0x3f4a47b2, v120
	v_add_f32_e32 v122, v133, v135
	v_sub_f32_e32 v124, v131, v135
	v_fma_f32 v96, v96, s6, -v120
	v_mul_f32_e32 v120, 0xbf08b237, v123
	v_mul_f32_e32 v123, 0x3f5ff5aa, v125
	v_add_f32_e32 v122, v131, v122
	v_fma_f32 v125, v125, s4, -v120
	v_fmac_f32_e32 v120, 0x3eae86e6, v124
	v_fma_f32 v123, v124, s7, -v123
	v_add_f32_e32 v95, v95, v126
	v_add_f32_e32 v121, v121, v126
	;; [unrolled: 1-line block ×3, first 2 shown]
	v_fmac_f32_e32 v120, 0x3ee1c552, v122
	v_fmac_f32_e32 v125, 0x3ee1c552, v122
	;; [unrolled: 1-line block ×3, first 2 shown]
	v_add_f32_e32 v122, v125, v121
	v_sub_f32_e32 v121, v121, v125
	v_sub_f32_e32 v124, v96, v123
	v_add_f32_e32 v123, v123, v96
	v_sub_f32_e32 v125, v95, v120
	v_add_f32_e32 v120, v120, v95
	ds_write_b32 v53, v92 offset:24
	ds_write2_b32 v118, v105, v93 offset1:1
	ds_write2_b32 v117, v104, v106 offset1:1
	ds_write_b32 v53, v62 offset:1396
	ds_write2_b32 v55, v60, v82 offset1:1
	ds_write2_b32 v57, v79, v77 offset1:1
	ds_write2_b32 v59, v78, v80 offset1:1
	ds_write_b32 v53, v81 offset:2768
	ds_write2_b32 v63, v58, v91 offset1:1
	;; [unrolled: 4-line block ×3, first 2 shown]
	ds_write2_b32 v67, v110, v108 offset1:1
	ds_write2_b32 v68, v107, v109 offset1:1
	ds_write_b32 v53, v94 offset:5512
	ds_write_b32 v53, v54 offset:6860
	ds_write2_b32 v69, v119, v116 offset1:1
	ds_write2_b32 v70, v114, v113 offset1:1
	;; [unrolled: 1-line block ×3, first 2 shown]
	ds_write_b32 v53, v52 offset:8232
	ds_write2_b32 v72, v125, v124 offset1:1
	ds_write2_b32 v75, v122, v121 offset1:1
	;; [unrolled: 1-line block ×3, first 2 shown]
	v_mov_b32_e32 v62, 37
	v_add_u16_e32 v66, 0x93, v16
	v_mul_lo_u16_sdwa v52, v66, v62 dst_sel:DWORD dst_unused:UNUSED_PAD src0_sel:BYTE_0 src1_sel:DWORD
	v_sub_u16_sdwa v53, v66, v52 dst_sel:DWORD dst_unused:UNUSED_PAD src0_sel:DWORD src1_sel:BYTE_1
	v_lshrrev_b16_e32 v53, 1, v53
	v_and_b32_e32 v53, 0x7f, v53
	v_add_u16_sdwa v52, v53, v52 dst_sel:DWORD dst_unused:UNUSED_PAD src0_sel:DWORD src1_sel:BYTE_1
	v_lshrrev_b16_e32 v52, 2, v52
	v_mul_lo_u16_e32 v53, 7, v52
	v_mov_b32_e32 v65, 6
	v_sub_u16_e32 v53, v66, v53
	v_add_u32_e32 v96, 0xc4, v16
	v_mul_u32_u24_sdwa v54, v53, v65 dst_sel:DWORD dst_unused:UNUSED_PAD src0_sel:BYTE_0 src1_sel:DWORD
	v_lshlrev_b32_e32 v64, 3, v54
	v_mul_lo_u16_sdwa v54, v96, v62 dst_sel:DWORD dst_unused:UNUSED_PAD src0_sel:BYTE_0 src1_sel:DWORD
	v_sub_u16_sdwa v55, v96, v54 dst_sel:DWORD dst_unused:UNUSED_PAD src0_sel:DWORD src1_sel:BYTE_1
	v_lshrrev_b16_e32 v55, 1, v55
	v_and_b32_e32 v55, 0x7f, v55
	v_add_u16_sdwa v54, v55, v54 dst_sel:DWORD dst_unused:UNUSED_PAD src0_sel:DWORD src1_sel:BYTE_1
	v_lshrrev_b16_e32 v58, 2, v54
	v_mul_lo_u16_e32 v54, 7, v58
	v_sub_u16_e32 v59, v96, v54
	v_add_u32_e32 v95, 0xf5, v16
	v_mul_u32_u24_sdwa v54, v59, v65 dst_sel:DWORD dst_unused:UNUSED_PAD src0_sel:BYTE_0 src1_sel:DWORD
	s_movk_i32 s10, 0x2493
	v_lshlrev_b32_e32 v92, 3, v54
	v_mul_u32_u24_sdwa v54, v95, s10 dst_sel:DWORD dst_unused:UNUSED_PAD src0_sel:WORD_0 src1_sel:DWORD
	v_sub_u16_sdwa v55, v95, v54 dst_sel:DWORD dst_unused:UNUSED_PAD src0_sel:DWORD src1_sel:WORD_1
	v_lshrrev_b16_e32 v55, 1, v55
	v_add_u16_sdwa v54, v55, v54 dst_sel:DWORD dst_unused:UNUSED_PAD src0_sel:DWORD src1_sel:WORD_1
	v_lshrrev_b16_e32 v56, 2, v54
	v_mul_lo_u16_e32 v54, 7, v56
	v_sub_u16_e32 v57, v95, v54
	v_mul_u32_u24_e32 v54, 6, v57
	v_add_u32_e32 v104, 0x126, v16
	v_lshlrev_b32_e32 v82, 3, v54
	v_mul_u32_u24_sdwa v54, v104, s10 dst_sel:DWORD dst_unused:UNUSED_PAD src0_sel:WORD_0 src1_sel:DWORD
	v_sub_u16_sdwa v55, v104, v54 dst_sel:DWORD dst_unused:UNUSED_PAD src0_sel:DWORD src1_sel:WORD_1
	s_waitcnt lgkmcnt(0)
	; wave barrier
	s_waitcnt lgkmcnt(0)
	global_load_dwordx4 v[69:72], v64, s[8:9] offset:32
	global_load_dwordx4 v[105:108], v82, s[8:9] offset:32
	v_lshrrev_b16_e32 v55, 1, v55
	v_add_u16_sdwa v54, v55, v54 dst_sel:DWORD dst_unused:UNUSED_PAD src0_sel:DWORD src1_sel:WORD_1
	global_load_dwordx4 v[75:78], v92, s[8:9] offset:32
	v_lshrrev_b16_e32 v54, 2, v54
	v_mul_lo_u16_e32 v55, 7, v54
	v_sub_u16_e32 v55, v104, v55
	v_mul_u32_u24_e32 v60, 6, v55
	v_add_u16_e32 v67, 0x62, v16
	v_lshlrev_b32_e32 v86, 3, v60
	global_load_dwordx4 v[109:112], v86, s[8:9] offset:32
	v_mul_lo_u16_sdwa v60, v67, v62 dst_sel:DWORD dst_unused:UNUSED_PAD src0_sel:BYTE_0 src1_sel:DWORD
	v_sub_u16_sdwa v68, v67, v60 dst_sel:DWORD dst_unused:UNUSED_PAD src0_sel:DWORD src1_sel:BYTE_1
	v_lshrrev_b16_e32 v68, 1, v68
	v_and_b32_e32 v68, 0x7f, v68
	v_add_u16_sdwa v60, v68, v60 dst_sel:DWORD dst_unused:UNUSED_PAD src0_sel:DWORD src1_sel:BYTE_1
	v_lshrrev_b16_e32 v60, 2, v60
	v_mul_lo_u16_e32 v68, 7, v60
	v_sub_u16_e32 v68, v67, v68
	v_mul_u32_u24_sdwa v81, v68, v65 dst_sel:DWORD dst_unused:UNUSED_PAD src0_sel:BYTE_0 src1_sel:DWORD
	v_lshlrev_b32_e32 v129, 3, v81
	global_load_dwordx4 v[119:122], v129, s[8:9] offset:32
	v_add_u16_e32 v63, 49, v16
	v_mul_lo_u16_sdwa v79, v63, v62 dst_sel:DWORD dst_unused:UNUSED_PAD src0_sel:BYTE_0 src1_sel:DWORD
	v_sub_u16_sdwa v80, v63, v79 dst_sel:DWORD dst_unused:UNUSED_PAD src0_sel:DWORD src1_sel:BYTE_1
	v_lshrrev_b16_e32 v80, 1, v80
	v_and_b32_e32 v80, 0x7f, v80
	v_add_u16_sdwa v79, v80, v79 dst_sel:DWORD dst_unused:UNUSED_PAD src0_sel:DWORD src1_sel:BYTE_1
	v_lshrrev_b16_e32 v152, 2, v79
	v_mul_lo_u16_e32 v79, 7, v152
	v_sub_u16_e32 v153, v63, v79
	v_mul_u32_u24_sdwa v63, v153, v65 dst_sel:DWORD dst_unused:UNUSED_PAD src0_sel:BYTE_0 src1_sel:DWORD
	v_mul_lo_u16_sdwa v62, v16, v62 dst_sel:DWORD dst_unused:UNUSED_PAD src0_sel:BYTE_0 src1_sel:DWORD
	v_lshlrev_b32_e32 v94, 3, v63
	global_load_dwordx4 v[124:127], v94, s[8:9] offset:32
	v_sub_u16_sdwa v63, v16, v62 dst_sel:DWORD dst_unused:UNUSED_PAD src0_sel:DWORD src1_sel:BYTE_1
	v_lshrrev_b16_e32 v63, 1, v63
	v_and_b32_e32 v63, 0x7f, v63
	v_add_u16_sdwa v62, v63, v62 dst_sel:DWORD dst_unused:UNUSED_PAD src0_sel:DWORD src1_sel:BYTE_1
	v_lshrrev_b16_e32 v62, 2, v62
	v_mul_lo_u16_e32 v63, 7, v62
	v_sub_u16_e32 v63, v16, v63
	v_mul_u32_u24_sdwa v65, v63, v65 dst_sel:DWORD dst_unused:UNUSED_PAD src0_sel:BYTE_0 src1_sel:DWORD
	v_lshlrev_b32_e32 v131, 3, v65
	global_load_dwordx4 v[136:139], v131, s[8:9] offset:32
	global_load_dwordx4 v[140:143], v86, s[8:9] offset:16
	global_load_dwordx4 v[156:159], v94, s[8:9]
	ds_read2_b32 v[90:91], v99 offset0:108 offset1:157
	ds_read2_b32 v[83:84], v89 offset0:70 offset1:119
	;; [unrolled: 1-line block ×4, first 2 shown]
	global_load_dwordx4 v[144:147], v82, s[8:9] offset:16
	global_load_dwordx4 v[148:151], v64, s[8:9] offset:16
	global_load_dwordx4 v[160:163], v92, s[8:9] offset:16
	global_load_dwordx4 v[164:167], v82, s[8:9]
	s_movk_i32 s10, 0x4f
	s_movk_i32 s11, 0x1000
	s_waitcnt vmcnt(12) lgkmcnt(2)
	v_mul_f32_e32 v65, v83, v70
	v_fma_f32 v79, v50, v69, -v65
	v_mul_f32_e32 v80, v50, v70
	v_mul_f32_e32 v50, v91, v72
	v_fma_f32 v81, v45, v71, -v50
	v_mul_f32_e32 v93, v45, v72
	s_waitcnt vmcnt(10)
	v_mul_f32_e32 v45, v84, v76
	v_fmac_f32_e32 v80, v83, v69
	v_fma_f32 v82, v51, v75, -v45
	v_mul_f32_e32 v83, v51, v76
	s_waitcnt lgkmcnt(1)
	v_mul_f32_e32 v45, v113, v78
	v_fmac_f32_e32 v83, v84, v75
	v_fma_f32 v84, v48, v77, -v45
	v_mul_f32_e32 v45, v114, v108
	v_mul_f32_e32 v85, v48, v78
	v_fma_f32 v75, v49, v107, -v45
	s_waitcnt lgkmcnt(0)
	v_mul_f32_e32 v45, v115, v106
	v_fmac_f32_e32 v85, v113, v77
	v_mul_f32_e32 v77, v49, v108
	v_fma_f32 v76, v46, v105, -v45
	global_load_dwordx4 v[48:51], v129, s[8:9] offset:16
	ds_read_b32 v45, v17 offset:9408
	v_mul_f32_e32 v78, v46, v106
	s_waitcnt vmcnt(10)
	v_mul_f32_e32 v46, v116, v110
	v_fma_f32 v69, v47, v109, -v46
	v_mul_f32_e32 v70, v47, v110
	s_waitcnt lgkmcnt(0)
	v_mul_f32_e32 v46, v45, v112
	v_mul_f32_e32 v72, v61, v112
	v_fmac_f32_e32 v93, v91, v71
	v_fmac_f32_e32 v70, v116, v109
	v_fma_f32 v71, v61, v111, -v46
	v_fmac_f32_e32 v72, v45, v111
	global_load_dwordx4 v[108:111], v94, s[8:9] offset:16
	global_load_dwordx4 v[168:171], v64, s[8:9]
	ds_read2_b32 v[64:65], v101 offset0:100 offset1:149
	s_waitcnt vmcnt(11)
	v_mul_f32_e32 v45, v90, v122
	v_fma_f32 v116, v44, v121, -v45
	v_mul_f32_e32 v118, v44, v122
	v_mul_f32_e32 v123, v41, v120
	s_waitcnt lgkmcnt(0)
	v_mul_f32_e32 v44, v65, v120
	v_fma_f32 v117, v41, v119, -v44
	global_load_dwordx4 v[44:47], v131, s[8:9] offset:16
	v_fmac_f32_e32 v118, v90, v121
	v_fmac_f32_e32 v123, v65, v119
	global_load_dwordx4 v[119:122], v86, s[8:9]
	global_load_dwordx4 v[172:175], v92, s[8:9]
	ds_read2_b32 v[90:91], v99 offset0:10 offset1:59
	s_waitcnt vmcnt(13)
	v_mul_f32_e32 v130, v40, v125
	v_mul_f32_e32 v41, v64, v125
	v_fmac_f32_e32 v130, v64, v124
	ds_read2_b32 v[64:65], v88 offset0:130 offset1:179
	v_fmac_f32_e32 v77, v114, v107
	ds_read2_b32 v[106:107], v74 offset0:122 offset1:171
	v_fma_f32 v128, v40, v124, -v41
	s_waitcnt lgkmcnt(2)
	v_mul_f32_e32 v40, v91, v127
	v_fma_f32 v133, v37, v126, -v40
	v_mul_f32_e32 v135, v37, v127
	s_waitcnt vmcnt(12)
	v_mul_f32_e32 v37, v90, v139
	v_fma_f32 v37, v36, v138, -v37
	v_mul_f32_e32 v40, v36, v139
	s_waitcnt lgkmcnt(1)
	v_mul_f32_e32 v36, v65, v137
	v_fmac_f32_e32 v40, v90, v138
	v_fma_f32 v36, v33, v136, -v36
	v_mul_f32_e32 v33, v33, v137
	s_waitcnt vmcnt(11)
	v_mul_f32_e32 v41, v64, v143
	v_mul_f32_e32 v90, v32, v143
	v_fmac_f32_e32 v33, v65, v136
	v_fma_f32 v86, v32, v142, -v41
	v_fmac_f32_e32 v90, v64, v142
	s_waitcnt lgkmcnt(0)
	v_mul_f32_e32 v32, v107, v141
	ds_read2_b32 v[64:65], v88 offset0:32 offset1:81
	global_load_dwordx4 v[176:179], v129, s[8:9]
	v_fmac_f32_e32 v135, v91, v126
	v_fma_f32 v91, v43, v140, -v32
	s_waitcnt vmcnt(10)
	v_mul_f32_e32 v32, v106, v145
	v_fmac_f32_e32 v78, v115, v105
	v_fma_f32 v94, v42, v144, -v32
	v_mul_f32_e32 v105, v42, v145
	ds_read2_b32 v[41:42], v102 offset0:152 offset1:201
	s_waitcnt lgkmcnt(1)
	v_mul_f32_e32 v32, v65, v147
	v_fmac_f32_e32 v105, v106, v144
	v_fma_f32 v106, v39, v146, -v32
	s_waitcnt vmcnt(8)
	v_mul_f32_e32 v32, v64, v163
	v_fma_f32 v112, v38, v162, -v32
	v_mul_f32_e32 v113, v38, v163
	s_waitcnt lgkmcnt(0)
	v_mul_f32_e32 v32, v42, v161
	v_mul_f32_e32 v115, v35, v161
	v_fmac_f32_e32 v113, v64, v162
	v_fma_f32 v114, v35, v160, -v32
	v_fmac_f32_e32 v115, v42, v160
	global_load_dwordx4 v[160:163], v131, s[8:9]
	v_mul_f32_e32 v92, v43, v141
	v_fmac_f32_e32 v92, v107, v140
	v_mul_f32_e32 v107, v39, v147
	ds_read2_b32 v[38:39], v98 offset0:190 offset1:239
	v_mul_f32_e32 v32, v41, v149
	v_fma_f32 v124, v34, v148, -v32
	v_mul_f32_e32 v127, v31, v151
	v_mul_f32_e32 v125, v34, v149
	s_waitcnt lgkmcnt(0)
	v_mul_f32_e32 v32, v39, v151
	v_fma_f32 v126, v31, v150, -v32
	ds_read2_b32 v[31:32], v102 offset0:54 offset1:103
	s_waitcnt vmcnt(7)
	v_mul_f32_e32 v34, v38, v51
	v_fma_f32 v136, v30, v50, -v34
	v_mul_f32_e32 v137, v30, v51
	v_mul_f32_e32 v139, v29, v49
	s_waitcnt lgkmcnt(0)
	v_mul_f32_e32 v30, v32, v49
	v_fma_f32 v138, v29, v48, -v30
	ds_read2_b32 v[29:30], v98 offset0:92 offset1:141
	v_fmac_f32_e32 v139, v32, v48
	v_fmac_f32_e32 v107, v65, v146
	;; [unrolled: 1-line block ×3, first 2 shown]
	s_waitcnt vmcnt(6)
	v_mul_f32_e32 v32, v31, v109
	v_mul_f32_e32 v145, v28, v109
	v_mul_f32_e32 v147, v25, v111
	v_fma_f32 v144, v28, v108, -v32
	v_fmac_f32_e32 v145, v31, v108
	s_waitcnt lgkmcnt(0)
	v_mul_f32_e32 v28, v30, v111
	v_fmac_f32_e32 v147, v30, v110
	ds_read2_b32 v[30:31], v73 offset0:84 offset1:133
	v_fma_f32 v146, v25, v110, -v28
	s_waitcnt vmcnt(4)
	v_mul_f32_e32 v25, v29, v47
	v_fma_f32 v25, v24, v46, -v25
	v_mul_f32_e32 v24, v24, v47
	s_waitcnt lgkmcnt(0)
	v_mul_f32_e32 v28, v31, v45
	v_fma_f32 v28, v21, v44, -v28
	v_mul_f32_e32 v21, v21, v45
	v_fmac_f32_e32 v21, v31, v44
	ds_read2_b32 v[31:32], v97 offset0:76 offset1:125
	v_fmac_f32_e32 v24, v29, v46
	s_waitcnt vmcnt(3)
	v_mul_f32_e32 v29, v30, v122
	v_mul_f32_e32 v109, v20, v122
	v_fma_f32 v108, v20, v121, -v29
	v_fmac_f32_e32 v109, v30, v121
	ds_read2_b32 v[29:30], v103 offset0:114 offset1:163
	s_waitcnt lgkmcnt(1)
	v_mul_f32_e32 v20, v32, v120
	v_fma_f32 v110, v27, v119, -v20
	v_mul_f32_e32 v111, v27, v120
	v_mul_f32_e32 v20, v31, v165
	v_fmac_f32_e32 v111, v32, v119
	v_fma_f32 v119, v26, v164, -v20
	v_mul_f32_e32 v120, v26, v165
	s_waitcnt lgkmcnt(0)
	v_mul_f32_e32 v20, v30, v167
	ds_read2_b32 v[26:27], v87 offset0:106 offset1:155
	v_fma_f32 v121, v23, v166, -v20
	s_waitcnt vmcnt(2)
	v_mul_f32_e32 v20, v29, v175
	v_mul_f32_e32 v122, v23, v167
	v_fma_f32 v129, v22, v174, -v20
	v_mul_f32_e32 v131, v22, v175
	ds_read2_b32 v[22:23], v103 offset0:16 offset1:65
	s_waitcnt lgkmcnt(1)
	v_mul_f32_e32 v20, v27, v173
	v_fma_f32 v132, v15, v172, -v20
	v_mul_f32_e32 v134, v15, v173
	v_mul_f32_e32 v15, v26, v169
	v_fma_f32 v140, v14, v168, -v15
	v_mul_f32_e32 v141, v14, v169
	s_waitcnt lgkmcnt(0)
	v_mul_f32_e32 v14, v23, v171
	v_fma_f32 v142, v13, v170, -v14
	v_mul_f32_e32 v143, v13, v171
	ds_read2_b32 v[13:14], v100 offset0:136 offset1:185
	s_waitcnt vmcnt(1)
	v_mul_f32_e32 v15, v22, v179
	v_fma_f32 v148, v12, v178, -v15
	v_mul_f32_e32 v149, v12, v179
	v_fmac_f32_e32 v127, v39, v150
	s_waitcnt lgkmcnt(0)
	v_mul_f32_e32 v12, v14, v177
	v_fma_f32 v150, v11, v176, -v12
	v_mul_f32_e32 v151, v11, v177
	ds_read2_b32 v[11:12], v97 offset0:174 offset1:223
	ds_read2_b32 v[48:49], v100 offset0:38 offset1:87
	v_fmac_f32_e32 v151, v14, v176
	v_mul_f32_e32 v14, v13, v157
	v_fma_f32 v154, v10, v156, -v14
	v_mul_f32_e32 v155, v10, v157
	s_waitcnt lgkmcnt(1)
	v_mul_f32_e32 v10, v12, v159
	v_fmac_f32_e32 v155, v13, v156
	v_fma_f32 v156, v9, v158, -v10
	v_mul_f32_e32 v157, v9, v159
	s_waitcnt vmcnt(0)
	v_mul_f32_e32 v9, v11, v163
	s_waitcnt lgkmcnt(0)
	v_mul_f32_e32 v10, v49, v161
	v_fma_f32 v9, v8, v162, -v9
	v_fma_f32 v10, v1, v160, -v10
	v_fmac_f32_e32 v157, v12, v158
	v_mul_f32_e32 v8, v8, v163
	v_add_f32_e32 v12, v10, v37
	v_add_f32_e32 v13, v9, v36
	v_fmac_f32_e32 v8, v11, v162
	v_mul_f32_e32 v11, v1, v161
	v_add_f32_e32 v14, v28, v25
	v_add_f32_e32 v20, v13, v12
	v_fmac_f32_e32 v134, v27, v172
	v_fmac_f32_e32 v11, v49, v160
	v_sub_f32_e32 v1, v13, v12
	v_sub_f32_e32 v15, v12, v14
	;; [unrolled: 1-line block ×3, first 2 shown]
	v_add_f32_e32 v27, v14, v20
	v_sub_f32_e32 v20, v8, v33
	v_sub_f32_e32 v13, v24, v21
	v_fmac_f32_e32 v149, v22, v178
	v_sub_f32_e32 v14, v11, v40
	v_add_f32_e32 v22, v13, v20
	v_fmac_f32_e32 v141, v26, v168
	v_sub_f32_e32 v26, v13, v20
	v_sub_f32_e32 v13, v14, v13
	;; [unrolled: 1-line block ×3, first 2 shown]
	v_add_f32_e32 v14, v22, v14
	v_add_f32_e32 v22, v6, v27
	v_fmac_f32_e32 v143, v23, v170
	v_mov_b32_e32 v23, v22
	v_fmac_f32_e32 v23, 0xbf955555, v27
	v_mov_b32_e32 v27, 2
	v_fmac_f32_e32 v131, v29, v174
	v_mul_u32_u24_e32 v6, 0xc4, v62
	v_lshlrev_b32_sdwa v29, v27, v63 dst_sel:DWORD dst_unused:UNUSED_PAD src0_sel:DWORD src1_sel:BYTE_0
	v_mul_f32_e32 v15, 0x3f4a47b2, v15
	v_add3_u32 v6, 0, v6, v29
	v_fma_f32 v29, v1, s6, -v15
	v_fmac_f32_e32 v15, 0x3d64c772, v12
	v_mul_f32_e32 v12, 0x3d64c772, v12
	v_mul_f32_e32 v26, 0xbf08b237, v26
	v_fma_f32 v1, v1, s5, -v12
	v_mul_f32_e32 v12, 0x3f5ff5aa, v20
	v_fmac_f32_e32 v122, v30, v166
	v_fma_f32 v30, v20, s4, -v26
	v_fma_f32 v12, v13, s7, -v12
	v_fmac_f32_e32 v26, 0x3eae86e6, v13
	v_add_f32_e32 v1, v1, v23
	v_add_f32_e32 v13, v29, v23
	v_fmac_f32_e32 v30, 0x3ee1c552, v14
	v_fmac_f32_e32 v12, 0x3ee1c552, v14
	;; [unrolled: 1-line block ×3, first 2 shown]
	v_add_f32_e32 v14, v12, v13
	v_sub_f32_e32 v20, v1, v30
	v_add_f32_e32 v1, v30, v1
	v_sub_f32_e32 v12, v13, v12
	v_add_f32_e32 v15, v15, v23
	ds_read2_b32 v[158:159], v17 offset1:49
	ds_read2_b32 v[64:65], v17 offset0:98 offset1:147
	ds_read2_b32 v[62:63], v17 offset0:196 offset1:245
	s_waitcnt lgkmcnt(0)
	; wave barrier
	s_waitcnt lgkmcnt(0)
	ds_write2_b32 v6, v1, v12 offset0:28 offset1:35
	v_add_f32_e32 v12, v154, v133
	v_add_f32_e32 v13, v156, v128
	v_fmac_f32_e32 v120, v31, v164
	v_add_f32_e32 v31, v26, v15
	ds_write2_b32 v6, v14, v20 offset0:14 offset1:21
	v_sub_f32_e32 v1, v15, v26
	v_add_f32_e32 v14, v144, v146
	v_add_f32_e32 v15, v13, v12
	ds_write2_b32 v6, v22, v31 offset1:7
	v_sub_f32_e32 v20, v13, v12
	v_sub_f32_e32 v12, v12, v14
	;; [unrolled: 1-line block ×3, first 2 shown]
	v_add_f32_e32 v14, v14, v15
	v_sub_f32_e32 v22, v157, v130
	v_sub_f32_e32 v23, v147, v145
	;; [unrolled: 1-line block ×3, first 2 shown]
	v_add_f32_e32 v26, v23, v22
	v_add_f32_e32 v7, v7, v14
	v_sub_f32_e32 v29, v23, v22
	v_sub_f32_e32 v23, v15, v23
	;; [unrolled: 1-line block ×3, first 2 shown]
	v_add_f32_e32 v15, v26, v15
	v_mov_b32_e32 v26, v7
	v_fmac_f32_e32 v26, 0xbf955555, v14
	ds_write_b32 v6, v1 offset:168
	v_mul_u32_u24_e32 v1, 0xc4, v152
	v_lshlrev_b32_sdwa v14, v27, v153 dst_sel:DWORD dst_unused:UNUSED_PAD src0_sel:DWORD src1_sel:BYTE_0
	v_add3_u32 v1, 0, v1, v14
	v_mul_f32_e32 v12, 0x3f4a47b2, v12
	v_mul_f32_e32 v14, 0xbf08b237, v29
	v_fma_f32 v29, v20, s6, -v12
	v_fmac_f32_e32 v12, 0x3d64c772, v13
	v_fma_f32 v30, v22, s4, -v14
	v_fmac_f32_e32 v14, 0x3eae86e6, v23
	v_add_f32_e32 v12, v12, v26
	v_fmac_f32_e32 v14, 0x3ee1c552, v15
	v_add_f32_e32 v31, v14, v12
	ds_write2_b32 v1, v7, v31 offset1:7
	v_mul_f32_e32 v7, 0x3d64c772, v13
	v_mul_f32_e32 v13, 0x3f5ff5aa, v22
	v_fma_f32 v7, v20, s5, -v7
	v_fma_f32 v13, v23, s7, -v13
	v_add_f32_e32 v7, v7, v26
	v_add_f32_e32 v20, v29, v26
	v_fmac_f32_e32 v30, 0x3ee1c552, v15
	v_fmac_f32_e32 v13, 0x3ee1c552, v15
	v_add_f32_e32 v15, v13, v20
	v_sub_f32_e32 v22, v7, v30
	v_add_f32_e32 v7, v30, v7
	v_sub_f32_e32 v13, v20, v13
	v_fmac_f32_e32 v137, v38, v50
	ds_write2_b32 v1, v7, v13 offset0:28 offset1:35
	v_sub_f32_e32 v7, v12, v14
	v_add_f32_e32 v12, v150, v116
	v_add_f32_e32 v13, v148, v117
	ds_write2_b32 v1, v15, v22 offset0:14 offset1:21
	v_add_f32_e32 v14, v138, v136
	v_add_f32_e32 v15, v13, v12
	v_sub_f32_e32 v22, v149, v123
	v_sub_f32_e32 v23, v137, v139
	;; [unrolled: 1-line block ×5, first 2 shown]
	v_add_f32_e32 v14, v14, v15
	v_sub_f32_e32 v15, v151, v118
	v_add_f32_e32 v26, v23, v22
	v_sub_f32_e32 v29, v23, v22
	v_sub_f32_e32 v23, v15, v23
	;; [unrolled: 1-line block ×3, first 2 shown]
	v_add_f32_e32 v15, v26, v15
	v_add_f32_e32 v26, v4, v14
	ds_write_b32 v1, v7 offset:168
	v_mul_u32_u24_e32 v4, 0xc4, v60
	v_lshlrev_b32_sdwa v7, v27, v68 dst_sel:DWORD dst_unused:UNUSED_PAD src0_sel:DWORD src1_sel:BYTE_0
	v_mov_b32_e32 v30, v26
	v_add3_u32 v4, 0, v4, v7
	v_mul_f32_e32 v7, 0x3f4a47b2, v12
	v_fmac_f32_e32 v30, 0xbf955555, v14
	v_fma_f32 v14, v20, s6, -v7
	v_fmac_f32_e32 v7, 0x3d64c772, v13
	v_mul_f32_e32 v13, 0x3d64c772, v13
	v_mul_f32_e32 v12, 0xbf08b237, v29
	v_fma_f32 v13, v20, s5, -v13
	v_mul_f32_e32 v20, 0x3f5ff5aa, v22
	v_fma_f32 v29, v22, s4, -v12
	v_fma_f32 v20, v23, s7, -v20
	v_fmac_f32_e32 v12, 0x3eae86e6, v23
	v_add_f32_e32 v13, v13, v30
	v_add_f32_e32 v14, v14, v30
	v_fmac_f32_e32 v29, 0x3ee1c552, v15
	v_fmac_f32_e32 v20, 0x3ee1c552, v15
	v_add_f32_e32 v7, v7, v30
	v_fmac_f32_e32 v12, 0x3ee1c552, v15
	v_add_f32_e32 v15, v20, v14
	v_sub_f32_e32 v22, v13, v29
	v_add_f32_e32 v13, v29, v13
	v_sub_f32_e32 v14, v14, v20
	v_add_f32_e32 v31, v12, v7
	ds_write2_b32 v4, v13, v14 offset0:28 offset1:35
	v_sub_f32_e32 v7, v7, v12
	v_add_f32_e32 v12, v140, v81
	v_add_f32_e32 v13, v142, v79
	ds_write2_b32 v4, v15, v22 offset0:14 offset1:21
	v_add_f32_e32 v14, v124, v126
	v_add_f32_e32 v15, v13, v12
	v_sub_f32_e32 v22, v143, v80
	v_sub_f32_e32 v23, v127, v125
	ds_write2_b32 v4, v26, v31 offset1:7
	v_sub_f32_e32 v20, v13, v12
	v_sub_f32_e32 v12, v12, v14
	;; [unrolled: 1-line block ×3, first 2 shown]
	v_add_f32_e32 v14, v14, v15
	v_sub_f32_e32 v15, v141, v93
	v_add_f32_e32 v26, v23, v22
	v_sub_f32_e32 v29, v23, v22
	v_sub_f32_e32 v23, v15, v23
	;; [unrolled: 1-line block ×3, first 2 shown]
	v_add_f32_e32 v15, v26, v15
	v_add_f32_e32 v26, v5, v14
	ds_write_b32 v4, v7 offset:168
	v_mul_u32_u24_e32 v5, 0xc4, v52
	v_lshlrev_b32_sdwa v7, v27, v53 dst_sel:DWORD dst_unused:UNUSED_PAD src0_sel:DWORD src1_sel:BYTE_0
	v_mov_b32_e32 v30, v26
	v_add3_u32 v5, 0, v5, v7
	v_mul_f32_e32 v7, 0x3f4a47b2, v12
	v_fmac_f32_e32 v30, 0xbf955555, v14
	v_fma_f32 v14, v20, s6, -v7
	v_fmac_f32_e32 v7, 0x3d64c772, v13
	v_mul_f32_e32 v13, 0x3d64c772, v13
	v_mul_f32_e32 v12, 0xbf08b237, v29
	v_fma_f32 v13, v20, s5, -v13
	v_mul_f32_e32 v20, 0x3f5ff5aa, v22
	v_fma_f32 v29, v22, s4, -v12
	v_fma_f32 v20, v23, s7, -v20
	v_fmac_f32_e32 v12, 0x3eae86e6, v23
	v_add_f32_e32 v13, v13, v30
	v_add_f32_e32 v14, v14, v30
	v_fmac_f32_e32 v29, 0x3ee1c552, v15
	v_fmac_f32_e32 v20, 0x3ee1c552, v15
	v_add_f32_e32 v7, v7, v30
	v_fmac_f32_e32 v12, 0x3ee1c552, v15
	v_add_f32_e32 v15, v20, v14
	v_sub_f32_e32 v22, v13, v29
	v_add_f32_e32 v13, v29, v13
	v_sub_f32_e32 v14, v14, v20
	v_add_f32_e32 v31, v12, v7
	ds_write2_b32 v5, v13, v14 offset0:28 offset1:35
	v_sub_f32_e32 v7, v7, v12
	v_add_f32_e32 v12, v132, v84
	v_add_f32_e32 v13, v129, v82
	ds_write2_b32 v5, v15, v22 offset0:14 offset1:21
	v_add_f32_e32 v14, v114, v112
	v_add_f32_e32 v15, v13, v12
	v_sub_f32_e32 v22, v131, v83
	v_sub_f32_e32 v23, v113, v115
	ds_write2_b32 v5, v26, v31 offset1:7
	v_sub_f32_e32 v20, v13, v12
	v_sub_f32_e32 v12, v12, v14
	;; [unrolled: 1-line block ×3, first 2 shown]
	v_add_f32_e32 v14, v14, v15
	v_sub_f32_e32 v15, v134, v85
	v_add_f32_e32 v26, v23, v22
	v_sub_f32_e32 v29, v23, v22
	v_sub_f32_e32 v23, v15, v23
	;; [unrolled: 1-line block ×3, first 2 shown]
	v_add_f32_e32 v15, v26, v15
	v_add_f32_e32 v26, v2, v14
	ds_write_b32 v5, v7 offset:168
	v_lshlrev_b32_sdwa v2, v27, v59 dst_sel:DWORD dst_unused:UNUSED_PAD src0_sel:DWORD src1_sel:BYTE_0
	v_mul_u32_u24_e32 v7, 0xc4, v58
	v_mov_b32_e32 v30, v26
	v_add3_u32 v2, 0, v7, v2
	v_mul_f32_e32 v7, 0x3f4a47b2, v12
	v_fmac_f32_e32 v30, 0xbf955555, v14
	v_fma_f32 v14, v20, s6, -v7
	v_fmac_f32_e32 v7, 0x3d64c772, v13
	v_mul_f32_e32 v13, 0x3d64c772, v13
	v_mul_f32_e32 v12, 0xbf08b237, v29
	v_fma_f32 v13, v20, s5, -v13
	v_mul_f32_e32 v20, 0x3f5ff5aa, v22
	v_fma_f32 v27, v22, s4, -v12
	v_fma_f32 v20, v23, s7, -v20
	v_fmac_f32_e32 v12, 0x3eae86e6, v23
	v_add_f32_e32 v13, v13, v30
	v_add_f32_e32 v14, v14, v30
	v_fmac_f32_e32 v27, 0x3ee1c552, v15
	v_fmac_f32_e32 v20, 0x3ee1c552, v15
	v_add_f32_e32 v7, v7, v30
	v_fmac_f32_e32 v12, 0x3ee1c552, v15
	v_add_f32_e32 v15, v20, v14
	v_sub_f32_e32 v22, v13, v27
	v_add_f32_e32 v13, v27, v13
	v_sub_f32_e32 v14, v14, v20
	v_add_f32_e32 v29, v12, v7
	ds_write2_b32 v2, v13, v14 offset0:28 offset1:35
	v_sub_f32_e32 v7, v7, v12
	v_add_f32_e32 v12, v119, v75
	v_add_f32_e32 v13, v121, v76
	ds_write2_b32 v2, v15, v22 offset0:14 offset1:21
	v_add_f32_e32 v14, v94, v106
	v_add_f32_e32 v15, v13, v12
	v_sub_f32_e32 v22, v122, v78
	v_sub_f32_e32 v23, v107, v105
	ds_write2_b32 v2, v26, v29 offset1:7
	v_sub_f32_e32 v20, v13, v12
	v_sub_f32_e32 v12, v12, v14
	;; [unrolled: 1-line block ×3, first 2 shown]
	v_add_f32_e32 v14, v14, v15
	v_sub_f32_e32 v15, v120, v77
	v_add_f32_e32 v26, v23, v22
	v_sub_f32_e32 v27, v23, v22
	v_sub_f32_e32 v23, v15, v23
	;; [unrolled: 1-line block ×3, first 2 shown]
	v_add_f32_e32 v15, v26, v15
	v_add_f32_e32 v26, v3, v14
	ds_write_b32 v2, v7 offset:168
	v_mul_u32_u24_e32 v3, 0xc4, v56
	v_lshlrev_b32_e32 v7, 2, v57
	v_mov_b32_e32 v29, v26
	v_add3_u32 v3, 0, v3, v7
	v_mul_f32_e32 v7, 0x3f4a47b2, v12
	v_fmac_f32_e32 v29, 0xbf955555, v14
	v_fma_f32 v14, v20, s6, -v7
	v_fmac_f32_e32 v7, 0x3d64c772, v13
	v_mul_f32_e32 v13, 0x3d64c772, v13
	v_mul_f32_e32 v12, 0xbf08b237, v27
	v_fma_f32 v13, v20, s5, -v13
	v_mul_f32_e32 v20, 0x3f5ff5aa, v22
	v_fma_f32 v27, v22, s4, -v12
	v_fma_f32 v20, v23, s7, -v20
	v_fmac_f32_e32 v12, 0x3eae86e6, v23
	v_add_f32_e32 v13, v13, v29
	v_add_f32_e32 v14, v14, v29
	v_fmac_f32_e32 v27, 0x3ee1c552, v15
	v_fmac_f32_e32 v20, 0x3ee1c552, v15
	v_add_f32_e32 v7, v7, v29
	v_fmac_f32_e32 v12, 0x3ee1c552, v15
	v_add_f32_e32 v15, v20, v14
	v_sub_f32_e32 v22, v13, v27
	v_add_f32_e32 v13, v27, v13
	v_sub_f32_e32 v14, v14, v20
	v_add_f32_e32 v11, v11, v40
	v_add_f32_e32 v8, v8, v33
	;; [unrolled: 1-line block ×3, first 2 shown]
	ds_write2_b32 v3, v13, v14 offset0:28 offset1:35
	v_sub_f32_e32 v7, v7, v12
	v_add_f32_e32 v12, v110, v71
	v_add_f32_e32 v13, v108, v69
	;; [unrolled: 1-line block ×3, first 2 shown]
	v_sub_f32_e32 v24, v25, v28
	v_add_f32_e32 v25, v8, v11
	ds_write2_b32 v3, v15, v22 offset0:14 offset1:21
	v_add_f32_e32 v14, v91, v86
	v_add_f32_e32 v15, v13, v12
	v_sub_f32_e32 v22, v109, v70
	v_sub_f32_e32 v23, v90, v92
	;; [unrolled: 1-line block ×4, first 2 shown]
	v_add_f32_e32 v8, v21, v25
	ds_write2_b32 v3, v26, v30 offset1:7
	v_sub_f32_e32 v20, v13, v12
	v_sub_f32_e32 v12, v12, v14
	;; [unrolled: 1-line block ×3, first 2 shown]
	v_add_f32_e32 v14, v14, v15
	v_sub_f32_e32 v15, v111, v72
	v_add_f32_e32 v26, v23, v22
	v_add_f32_e32 v158, v158, v8
	v_sub_f32_e32 v27, v23, v22
	v_sub_f32_e32 v23, v15, v23
	v_sub_f32_e32 v22, v22, v15
	v_add_f32_e32 v15, v26, v15
	v_add_f32_e32 v26, v0, v14
	ds_write_b32 v3, v7 offset:168
	v_mul_u32_u24_e32 v0, 0xc4, v54
	v_lshlrev_b32_e32 v7, 2, v55
	v_sub_f32_e32 v10, v10, v37
	v_sub_f32_e32 v9, v9, v36
	v_mov_b32_e32 v162, v158
	v_mov_b32_e32 v29, v26
	v_add3_u32 v0, 0, v0, v7
	v_mul_f32_e32 v7, 0x3f4a47b2, v12
	v_mul_f32_e32 v12, 0xbf08b237, v27
	v_sub_f32_e32 v11, v11, v21
	v_add_f32_e32 v21, v24, v9
	v_sub_f32_e32 v25, v24, v9
	v_sub_f32_e32 v160, v9, v10
	v_fmac_f32_e32 v162, 0xbf955555, v8
	v_mul_f32_e32 v8, 0x3d64c772, v13
	v_mul_f32_e32 v9, 0x3f5ff5aa, v22
	v_fmac_f32_e32 v29, 0xbf955555, v14
	v_fma_f32 v14, v20, s6, -v7
	v_fmac_f32_e32 v7, 0x3d64c772, v13
	v_fma_f32 v27, v22, s4, -v12
	v_fmac_f32_e32 v12, 0x3eae86e6, v23
	v_sub_f32_e32 v153, v10, v24
	v_add_f32_e32 v161, v21, v10
	v_fma_f32 v8, v20, s5, -v8
	v_fma_f32 v9, v23, s7, -v9
	v_mul_f32_e32 v10, 0x3f4a47b2, v11
	v_mul_f32_e32 v163, 0xbf08b237, v25
	v_add_f32_e32 v7, v7, v29
	v_fmac_f32_e32 v12, 0x3ee1c552, v15
	v_add_f32_e32 v8, v8, v29
	v_add_f32_e32 v11, v14, v29
	v_fma_f32 v164, v49, s6, -v10
	v_fmac_f32_e32 v10, 0x3d64c772, v152
	v_fmac_f32_e32 v27, 0x3ee1c552, v15
	;; [unrolled: 1-line block ×3, first 2 shown]
	v_fma_f32 v165, v160, s4, -v163
	v_fmac_f32_e32 v163, 0x3eae86e6, v153
	v_add_f32_e32 v30, v12, v7
	v_sub_f32_e32 v13, v8, v27
	v_add_f32_e32 v14, v9, v11
	v_add_f32_e32 v166, v10, v162
	v_fmac_f32_e32 v163, 0x3ee1c552, v161
	v_sub_f32_e32 v7, v7, v12
	ds_write2_b32 v0, v26, v30 offset1:7
	v_add_f32_e32 v8, v27, v8
	v_sub_f32_e32 v9, v11, v9
	ds_write2_b32 v0, v14, v13 offset0:14 offset1:21
	ds_write2_b32 v0, v8, v9 offset0:28 offset1:35
	ds_write_b32 v0, v7 offset:168
	v_sub_f32_e32 v7, v166, v163
	s_waitcnt lgkmcnt(0)
	; wave barrier
	s_waitcnt lgkmcnt(0)
	ds_read2_b32 v[14:15], v17 offset1:49
	ds_read2_b32 v[8:9], v100 offset0:38 offset1:87
	ds_read2_b32 v[58:59], v97 offset0:174 offset1:223
	ds_read_b32 v68, v17 offset:9408
	ds_read2_b32 v[30:31], v73 offset0:84 offset1:133
	ds_read2_b32 v[60:61], v98 offset0:92 offset1:141
	;; [unrolled: 1-line block ×21, first 2 shown]
	s_waitcnt lgkmcnt(0)
	; wave barrier
	s_waitcnt lgkmcnt(0)
	ds_write2_b32 v6, v158, v7 offset1:7
	v_mul_f32_e32 v7, 0x3d64c772, v152
	v_fma_f32 v7, v49, s5, -v7
	v_mul_f32_e32 v49, 0x3f5ff5aa, v160
	v_fma_f32 v49, v153, s7, -v49
	v_add_f32_e32 v7, v7, v162
	v_fmac_f32_e32 v165, 0x3ee1c552, v161
	v_add_f32_e32 v152, v164, v162
	v_fmac_f32_e32 v49, 0x3ee1c552, v161
	v_add_f32_e32 v153, v165, v7
	v_sub_f32_e32 v158, v7, v165
	v_add_f32_e32 v7, v155, v135
	v_add_f32_e32 v130, v157, v130
	v_sub_f32_e32 v160, v152, v49
	v_add_f32_e32 v152, v49, v152
	v_sub_f32_e32 v49, v154, v133
	v_sub_f32_e32 v128, v156, v128
	v_add_f32_e32 v133, v145, v147
	v_sub_f32_e32 v135, v146, v144
	v_add_f32_e32 v144, v130, v7
	v_sub_f32_e32 v145, v130, v7
	v_sub_f32_e32 v146, v7, v133
	;; [unrolled: 1-line block ×3, first 2 shown]
	v_add_f32_e32 v133, v133, v144
	v_add_f32_e32 v7, v135, v128
	v_sub_f32_e32 v144, v135, v128
	v_sub_f32_e32 v135, v49, v135
	v_sub_f32_e32 v128, v128, v49
	v_add_f32_e32 v49, v7, v49
	v_add_f32_e32 v7, v159, v133
	;; [unrolled: 1-line block ×4, first 2 shown]
	v_mov_b32_e32 v147, v7
	v_add_f32_e32 v137, v139, v137
	v_sub_f32_e32 v136, v136, v138
	v_add_f32_e32 v138, v123, v118
	v_fmac_f32_e32 v147, 0xbf955555, v133
	v_mul_f32_e32 v133, 0x3f4a47b2, v146
	v_mul_f32_e32 v146, 0x3d64c772, v130
	v_sub_f32_e32 v117, v148, v117
	v_sub_f32_e32 v139, v123, v118
	;; [unrolled: 1-line block ×4, first 2 shown]
	v_add_f32_e32 v137, v137, v138
	v_fma_f32 v146, v145, s5, -v146
	v_fma_f32 v145, v145, s6, -v133
	v_fmac_f32_e32 v133, 0x3d64c772, v130
	v_sub_f32_e32 v116, v150, v116
	v_add_f32_e32 v138, v136, v117
	v_add_f32_e32 v64, v64, v137
	;; [unrolled: 1-line block ×6, first 2 shown]
	v_sub_f32_e32 v145, v136, v117
	v_sub_f32_e32 v136, v116, v136
	v_sub_f32_e32 v117, v117, v116
	v_add_f32_e32 v116, v138, v116
	v_mov_b32_e32 v138, v64
	v_add_f32_e32 v125, v125, v127
	v_sub_f32_e32 v124, v126, v124
	v_add_f32_e32 v126, v80, v93
	v_fmac_f32_e32 v138, 0xbf955555, v137
	v_mul_f32_e32 v118, 0x3f4a47b2, v118
	v_mul_f32_e32 v137, 0x3d64c772, v123
	v_sub_f32_e32 v79, v142, v79
	v_sub_f32_e32 v127, v80, v93
	v_sub_f32_e32 v93, v93, v125
	v_sub_f32_e32 v80, v125, v80
	v_add_f32_e32 v125, v125, v126
	v_fma_f32 v137, v139, s5, -v137
	v_fma_f32 v139, v139, s6, -v118
	v_fmac_f32_e32 v118, 0x3d64c772, v123
	v_mul_f32_e32 v145, 0xbf08b237, v145
	v_mul_f32_e32 v123, 0x3f5ff5aa, v117
	v_sub_f32_e32 v81, v140, v81
	v_add_f32_e32 v126, v124, v79
	v_add_f32_e32 v65, v65, v125
	v_add_f32_e32 v85, v134, v85
	v_add_f32_e32 v83, v131, v83
	v_fma_f32 v117, v117, s4, -v145
	v_fmac_f32_e32 v145, 0x3eae86e6, v136
	v_fma_f32 v123, v136, s7, -v123
	v_add_f32_e32 v136, v118, v138
	v_add_f32_e32 v118, v137, v138
	v_add_f32_e32 v137, v139, v138
	v_sub_f32_e32 v138, v124, v79
	v_sub_f32_e32 v124, v81, v124
	v_sub_f32_e32 v79, v79, v81
	v_add_f32_e32 v81, v126, v81
	v_mov_b32_e32 v126, v65
	v_add_f32_e32 v113, v115, v113
	v_sub_f32_e32 v112, v112, v114
	v_add_f32_e32 v114, v83, v85
	v_fmac_f32_e32 v126, 0xbf955555, v125
	v_mul_f32_e32 v93, 0x3f4a47b2, v93
	v_mul_f32_e32 v125, 0x3d64c772, v80
	v_sub_f32_e32 v82, v129, v82
	v_sub_f32_e32 v115, v83, v85
	v_sub_f32_e32 v85, v85, v113
	v_sub_f32_e32 v83, v113, v83
	v_add_f32_e32 v113, v113, v114
	v_fma_f32 v125, v127, s5, -v125
	v_fma_f32 v127, v127, s6, -v93
	v_fmac_f32_e32 v93, 0x3d64c772, v80
	v_mul_f32_e32 v138, 0xbf08b237, v138
	v_mul_f32_e32 v80, 0x3f5ff5aa, v79
	v_sub_f32_e32 v84, v132, v84
	v_add_f32_e32 v114, v112, v82
	v_add_f32_e32 v62, v62, v113
	v_add_f32_e32 v77, v120, v77
	v_add_f32_e32 v78, v122, v78
	v_fma_f32 v139, v79, s4, -v138
	v_fmac_f32_e32 v138, 0x3eae86e6, v124
	v_fma_f32 v124, v124, s7, -v80
	v_add_f32_e32 v140, v93, v126
	v_add_f32_e32 v80, v125, v126
	v_add_f32_e32 v93, v127, v126
	v_sub_f32_e32 v126, v112, v82
	v_sub_f32_e32 v112, v84, v112
	v_sub_f32_e32 v82, v82, v84
	v_add_f32_e32 v84, v114, v84
	v_mov_b32_e32 v114, v62
	v_add_f32_e32 v105, v105, v107
	v_sub_f32_e32 v94, v106, v94
	v_add_f32_e32 v106, v78, v77
	v_fmac_f32_e32 v114, 0xbf955555, v113
	v_mul_f32_e32 v85, 0x3f4a47b2, v85
	v_mul_f32_e32 v113, 0x3d64c772, v83
	v_sub_f32_e32 v76, v121, v76
	v_sub_f32_e32 v107, v78, v77
	v_sub_f32_e32 v77, v77, v105
	v_sub_f32_e32 v78, v105, v78
	v_add_f32_e32 v105, v105, v106
	v_fma_f32 v113, v115, s5, -v113
	v_fma_f32 v115, v115, s6, -v85
	v_fmac_f32_e32 v85, 0x3d64c772, v83
	v_mul_f32_e32 v126, 0xbf08b237, v126
	v_mul_f32_e32 v83, 0x3f5ff5aa, v82
	v_sub_f32_e32 v75, v119, v75
	v_add_f32_e32 v106, v94, v76
	v_add_f32_e32 v63, v63, v105
	v_add_f32_e32 v72, v111, v72
	v_add_f32_e32 v70, v109, v70
	v_fma_f32 v127, v82, s4, -v126
	v_fmac_f32_e32 v126, 0x3eae86e6, v112
	v_fma_f32 v112, v112, s7, -v83
	v_add_f32_e32 v129, v85, v114
	v_add_f32_e32 v83, v113, v114
	v_add_f32_e32 v85, v115, v114
	v_sub_f32_e32 v114, v94, v76
	v_sub_f32_e32 v94, v75, v94
	;; [unrolled: 1-line block ×3, first 2 shown]
	v_add_f32_e32 v75, v106, v75
	v_mov_b32_e32 v106, v63
	v_add_f32_e32 v90, v92, v90
	v_sub_f32_e32 v86, v86, v91
	v_add_f32_e32 v91, v70, v72
	v_fmac_f32_e32 v106, 0xbf955555, v105
	v_mul_f32_e32 v77, 0x3f4a47b2, v77
	v_mul_f32_e32 v105, 0x3d64c772, v78
	v_sub_f32_e32 v69, v108, v69
	v_sub_f32_e32 v92, v70, v72
	;; [unrolled: 1-line block ×4, first 2 shown]
	v_add_f32_e32 v90, v90, v91
	v_fma_f32 v105, v107, s5, -v105
	v_fma_f32 v107, v107, s6, -v77
	v_fmac_f32_e32 v77, 0x3d64c772, v78
	v_mul_f32_e32 v114, 0xbf08b237, v114
	v_mul_f32_e32 v78, 0x3f5ff5aa, v76
	v_sub_f32_e32 v71, v110, v71
	v_add_f32_e32 v91, v86, v69
	v_add_f32_e32 v48, v48, v90
	v_fma_f32 v76, v76, s4, -v114
	v_fmac_f32_e32 v114, 0x3eae86e6, v94
	v_fma_f32 v78, v94, s7, -v78
	v_add_f32_e32 v94, v77, v106
	v_add_f32_e32 v77, v105, v106
	;; [unrolled: 1-line block ×3, first 2 shown]
	v_sub_f32_e32 v106, v86, v69
	v_sub_f32_e32 v86, v71, v86
	;; [unrolled: 1-line block ×3, first 2 shown]
	v_add_f32_e32 v71, v91, v71
	v_mov_b32_e32 v91, v48
	v_fmac_f32_e32 v91, 0xbf955555, v90
	v_mul_f32_e32 v72, 0x3f4a47b2, v72
	v_mul_f32_e32 v90, 0x3d64c772, v70
	v_mul_f32_e32 v154, 0xbf08b237, v144
	v_mul_f32_e32 v130, 0x3f5ff5aa, v128
	v_fma_f32 v90, v92, s5, -v90
	v_fma_f32 v92, v92, s6, -v72
	v_fmac_f32_e32 v72, 0x3d64c772, v70
	v_mul_f32_e32 v106, 0xbf08b237, v106
	v_mul_f32_e32 v70, 0x3f5ff5aa, v69
	v_fma_f32 v128, v128, s4, -v154
	v_fmac_f32_e32 v154, 0x3eae86e6, v135
	v_fma_f32 v135, v135, s7, -v130
	v_fma_f32 v107, v69, s4, -v106
	v_fmac_f32_e32 v106, 0x3eae86e6, v86
	v_fma_f32 v86, v86, s7, -v70
	v_add_f32_e32 v130, v146, v147
	v_fmac_f32_e32 v154, 0x3ee1c552, v49
	v_fmac_f32_e32 v128, 0x3ee1c552, v49
	;; [unrolled: 1-line block ×15, first 2 shown]
	v_add_f32_e32 v108, v72, v91
	v_add_f32_e32 v70, v90, v91
	;; [unrolled: 1-line block ×3, first 2 shown]
	v_fmac_f32_e32 v106, 0x3ee1c552, v71
	v_fmac_f32_e32 v107, 0x3ee1c552, v71
	;; [unrolled: 1-line block ×3, first 2 shown]
	v_add_f32_e32 v161, v163, v166
	v_add_f32_e32 v49, v128, v130
	v_sub_f32_e32 v128, v130, v128
	v_sub_f32_e32 v130, v133, v135
	v_add_f32_e32 v133, v135, v133
	v_sub_f32_e32 v144, v155, v154
	v_add_f32_e32 v135, v154, v155
	v_add_f32_e32 v116, v117, v118
	v_sub_f32_e32 v117, v118, v117
	v_sub_f32_e32 v118, v137, v123
	v_add_f32_e32 v123, v123, v137
	v_sub_f32_e32 v137, v136, v145
	;; [unrolled: 6-line block ×6, first 2 shown]
	v_add_f32_e32 v86, v106, v108
	ds_write2_b32 v6, v160, v153 offset0:14 offset1:21
	ds_write2_b32 v6, v158, v152 offset0:28 offset1:35
	ds_write_b32 v6, v161 offset:168
	ds_write2_b32 v1, v7, v144 offset1:7
	ds_write2_b32 v1, v130, v49 offset0:14 offset1:21
	ds_write2_b32 v1, v128, v133 offset0:28 offset1:35
	ds_write_b32 v1, v135 offset:168
	ds_write2_b32 v4, v64, v137 offset1:7
	;; [unrolled: 4-line block ×6, first 2 shown]
	ds_write2_b32 v0, v71, v69 offset0:14 offset1:21
	ds_write2_b32 v0, v70, v72 offset0:28 offset1:35
	ds_write_b32 v0, v86 offset:168
	v_mul_u32_u24_e32 v0, 6, v16
	v_lshlrev_b32_e32 v77, 3, v0
	s_waitcnt lgkmcnt(0)
	; wave barrier
	s_waitcnt lgkmcnt(0)
	global_load_dwordx4 v[78:81], v77, s[8:9] offset:336
	global_load_dwordx4 v[90:93], v77, s[8:9] offset:352
	;; [unrolled: 1-line block ×3, first 2 shown]
	v_mul_lo_u16_sdwa v4, v67, s10 dst_sel:DWORD dst_unused:UNUSED_PAD src0_sel:BYTE_0 src1_sel:DWORD
	v_sub_u16_sdwa v5, v67, v4 dst_sel:DWORD dst_unused:UNUSED_PAD src0_sel:DWORD src1_sel:BYTE_1
	v_lshrrev_b16_e32 v5, 1, v5
	v_and_b32_e32 v5, 0x7f, v5
	v_add_u16_sdwa v4, v5, v4 dst_sel:DWORD dst_unused:UNUSED_PAD src0_sel:DWORD src1_sel:BYTE_1
	v_lshrrev_b16_e32 v4, 5, v4
	v_mul_lo_u16_e32 v4, 49, v4
	v_sub_u16_e32 v4, v67, v4
	v_and_b32_e32 v70, 0xff, v4
	v_mul_u32_u24_e32 v4, 6, v70
	v_lshlrev_b32_e32 v62, 3, v4
	global_load_dwordx4 v[105:108], v62, s[8:9] offset:336
	v_mul_lo_u16_sdwa v67, v66, s10 dst_sel:DWORD dst_unused:UNUSED_PAD src0_sel:BYTE_0 src1_sel:DWORD
	v_sub_u16_sdwa v69, v66, v67 dst_sel:DWORD dst_unused:UNUSED_PAD src0_sel:DWORD src1_sel:BYTE_1
	v_lshrrev_b16_e32 v69, 1, v69
	v_and_b32_e32 v69, 0x7f, v69
	v_add_u16_sdwa v67, v69, v67 dst_sel:DWORD dst_unused:UNUSED_PAD src0_sel:DWORD src1_sel:BYTE_1
	ds_read2_b32 v[48:49], v100 offset0:38 offset1:87
	ds_read2_b32 v[71:72], v97 offset0:174 offset1:223
	global_load_dwordx4 v[4:7], v62, s[8:9] offset:368
	global_load_dwordx4 v[110:113], v62, s[8:9] offset:352
	v_lshrrev_b16_e32 v67, 5, v67
	v_mul_lo_u16_e32 v67, 49, v67
	v_sub_u16_e32 v66, v66, v67
	v_and_b32_e32 v84, 0xff, v66
	v_mul_u32_u24_e32 v66, 6, v84
	v_lshlrev_b32_e32 v94, 3, v66
	ds_read2_b32 v[64:65], v73 offset0:84 offset1:133
	ds_read2_b32 v[82:83], v98 offset0:92 offset1:141
	;; [unrolled: 1-line block ×7, first 2 shown]
	global_load_dwordx4 v[123:126], v94, s[8:9] offset:336
	global_load_dwordx4 v[140:143], v94, s[8:9] offset:352
	;; [unrolled: 1-line block ×3, first 2 shown]
	s_waitcnt vmcnt(8) lgkmcnt(8)
	v_mul_f32_e32 v66, v49, v79
	v_fma_f32 v66, v9, v78, -v66
	v_mul_f32_e32 v67, v9, v79
	s_waitcnt lgkmcnt(7)
	v_mul_f32_e32 v9, v71, v81
	v_fmac_f32_e32 v67, v49, v78
	v_fma_f32 v49, v58, v80, -v9
	s_waitcnt vmcnt(7) lgkmcnt(6)
	v_mul_f32_e32 v9, v65, v91
	v_mul_f32_e32 v58, v58, v81
	v_fma_f32 v69, v31, v90, -v9
	v_mul_f32_e32 v31, v31, v91
	v_mul_f32_e32 v9, v72, v81
	v_fmac_f32_e32 v58, v71, v80
	v_fmac_f32_e32 v31, v65, v90
	v_fma_f32 v9, v59, v80, -v9
	v_mul_f32_e32 v71, v59, v81
	s_waitcnt lgkmcnt(5)
	v_mul_f32_e32 v59, v82, v93
	s_waitcnt lgkmcnt(2)
	v_mul_f32_e32 v65, v114, v79
	v_fma_f32 v59, v60, v92, -v59
	v_fmac_f32_e32 v71, v72, v80
	v_fma_f32 v72, v54, v78, -v65
	v_mul_f32_e32 v75, v54, v79
	v_mul_f32_e32 v54, v60, v93
	s_waitcnt vmcnt(6)
	v_mul_f32_e32 v60, v63, v1
	v_fma_f32 v60, v23, v0, -v60
	v_mul_f32_e32 v23, v23, v1
	v_fmac_f32_e32 v23, v63, v0
	v_mul_f32_e32 v63, v83, v93
	v_fma_f32 v63, v61, v92, -v63
	v_mul_f32_e32 v76, v61, v93
	v_mul_f32_e32 v61, v85, v3
	s_waitcnt lgkmcnt(1)
	v_mul_f32_e32 v65, v116, v91
	v_fmac_f32_e32 v75, v114, v78
	v_fma_f32 v61, v56, v2, -v61
	v_fma_f32 v78, v52, v90, -v65
	v_mul_f32_e32 v79, v52, v91
	v_mul_f32_e32 v52, v56, v3
	s_waitcnt lgkmcnt(0)
	v_mul_f32_e32 v56, v118, v1
	v_mul_f32_e32 v81, v50, v1
	v_fma_f32 v80, v50, v0, -v56
	v_fmac_f32_e32 v81, v118, v0
	v_mul_f32_e32 v0, v86, v3
	v_fmac_f32_e32 v54, v82, v92
	v_fma_f32 v82, v57, v2, -v0
	v_mul_lo_u16_sdwa v0, v96, s10 dst_sel:DWORD dst_unused:UNUSED_PAD src0_sel:BYTE_0 src1_sel:DWORD
	v_sub_u16_sdwa v1, v96, v0 dst_sel:DWORD dst_unused:UNUSED_PAD src0_sel:DWORD src1_sel:BYTE_1
	v_lshrrev_b16_e32 v1, 1, v1
	v_and_b32_e32 v1, 0x7f, v1
	v_add_u16_sdwa v0, v1, v0 dst_sel:DWORD dst_unused:UNUSED_PAD src0_sel:DWORD src1_sel:BYTE_1
	v_lshrrev_b16_e32 v0, 5, v0
	v_mul_lo_u16_e32 v0, 49, v0
	v_sub_u16_e32 v0, v96, v0
	v_and_b32_e32 v50, 0xff, v0
	v_mul_u32_u24_e32 v0, 6, v50
	s_movk_i32 s10, 0x4e5f
	v_lshlrev_b32_e32 v65, 3, v0
	v_mul_u32_u24_sdwa v0, v95, s10 dst_sel:DWORD dst_unused:UNUSED_PAD src0_sel:WORD_0 src1_sel:DWORD
	v_sub_u16_sdwa v1, v95, v0 dst_sel:DWORD dst_unused:UNUSED_PAD src0_sel:DWORD src1_sel:WORD_1
	v_lshrrev_b16_e32 v1, 1, v1
	v_add_u16_sdwa v0, v1, v0 dst_sel:DWORD dst_unused:UNUSED_PAD src0_sel:DWORD src1_sel:WORD_1
	v_lshrrev_b16_e32 v0, 5, v0
	v_mul_lo_u16_e32 v0, 49, v0
	v_sub_u16_e32 v56, v95, v0
	v_mul_u32_u24_e32 v0, 6, v56
	v_fmac_f32_e32 v79, v116, v90
	v_lshlrev_b32_e32 v90, 3, v0
	v_mul_u32_u24_sdwa v0, v104, s10 dst_sel:DWORD dst_unused:UNUSED_PAD src0_sel:WORD_0 src1_sel:DWORD
	v_sub_u16_sdwa v1, v104, v0 dst_sel:DWORD dst_unused:UNUSED_PAD src0_sel:DWORD src1_sel:WORD_1
	global_load_dwordx4 v[152:155], v65, s[8:9] offset:336
	v_lshrrev_b16_e32 v1, 1, v1
	v_add_u16_sdwa v0, v1, v0 dst_sel:DWORD dst_unused:UNUSED_PAD src0_sel:DWORD src1_sel:WORD_1
	v_lshrrev_b16_e32 v0, 5, v0
	v_mul_lo_u16_e32 v0, 49, v0
	v_fmac_f32_e32 v76, v83, v92
	v_mul_f32_e32 v83, v57, v3
	v_sub_u16_e32 v57, v104, v0
	global_load_dwordx4 v[156:159], v90, s[8:9] offset:336
	v_mul_u32_u24_e32 v0, 6, v57
	v_fmac_f32_e32 v52, v85, v2
	v_lshlrev_b32_e32 v94, 3, v0
	v_fmac_f32_e32 v83, v86, v2
	ds_read2_b32 v[85:86], v103 offset0:16 offset1:65
	global_load_dwordx4 v[160:163], v94, s[8:9] offset:336
	s_waitcnt vmcnt(8)
	v_mul_f32_e32 v0, v115, v106
	v_fma_f32 v91, v55, v105, -v0
	v_mul_f32_e32 v92, v55, v106
	s_waitcnt lgkmcnt(0)
	v_mul_f32_e32 v0, v85, v108
	v_fma_f32 v93, v46, v107, -v0
	global_load_dwordx4 v[0:3], v65, s[8:9] offset:352
	ds_read2_b32 v[127:128], v98 offset0:190 offset1:239
	ds_read2_b32 v[131:132], v99 offset0:108 offset1:157
	global_load_dwordx4 v[164:167], v90, s[8:9] offset:352
	global_load_dwordx4 v[172:175], v65, s[8:9] offset:368
	;; [unrolled: 1-line block ×4, first 2 shown]
	v_fmac_f32_e32 v92, v115, v105
	v_mul_f32_e32 v105, v46, v108
	s_waitcnt vmcnt(11)
	v_mul_f32_e32 v46, v117, v111
	v_mul_f32_e32 v109, v53, v111
	v_fmac_f32_e32 v105, v85, v107
	v_fma_f32 v107, v53, v110, -v46
	v_fmac_f32_e32 v109, v117, v110
	ds_read2_b32 v[110:111], v87 offset0:106 offset1:155
	s_waitcnt lgkmcnt(2)
	v_mul_f32_e32 v46, v127, v113
	v_fma_f32 v115, v44, v112, -v46
	v_mul_f32_e32 v116, v44, v113
	v_mul_f32_e32 v44, v119, v5
	;; [unrolled: 1-line block ×3, first 2 shown]
	v_fma_f32 v118, v51, v4, -v44
	v_fmac_f32_e32 v130, v119, v4
	s_waitcnt lgkmcnt(1)
	v_mul_f32_e32 v4, v131, v7
	v_fma_f32 v134, v42, v6, -v4
	v_mul_f32_e32 v136, v42, v7
	s_waitcnt vmcnt(10) lgkmcnt(0)
	v_mul_f32_e32 v4, v110, v124
	v_fmac_f32_e32 v116, v127, v112
	v_fmac_f32_e32 v136, v131, v6
	v_fma_f32 v112, v40, v123, -v4
	v_mul_f32_e32 v4, v86, v126
	s_waitcnt vmcnt(9)
	v_mul_f32_e32 v6, v128, v143
	v_mul_f32_e32 v121, v40, v124
	v_fma_f32 v122, v47, v125, -v4
	v_mul_f32_e32 v124, v47, v126
	v_fma_f32 v135, v45, v142, -v6
	v_mul_f32_e32 v137, v45, v143
	global_load_dwordx4 v[44:47], v94, s[8:9] offset:368
	ds_read2_b32 v[4:5], v102 offset0:152 offset1:201
	ds_read2_b32 v[119:120], v89 offset0:70 offset1:119
	v_mul_f32_e32 v139, v34, v141
	v_fmac_f32_e32 v137, v128, v142
	s_waitcnt vmcnt(9)
	v_mul_f32_e32 v149, v43, v147
	s_waitcnt lgkmcnt(1)
	v_mul_f32_e32 v6, v4, v141
	v_fmac_f32_e32 v139, v4, v140
	v_mul_f32_e32 v4, v132, v147
	v_fma_f32 v138, v34, v140, -v6
	v_fma_f32 v148, v43, v146, -v4
	ds_read2_b32 v[6:7], v103 offset0:114 offset1:163
	s_waitcnt lgkmcnt(1)
	v_mul_f32_e32 v4, v119, v145
	v_fma_f32 v150, v26, v144, -v4
	v_fmac_f32_e32 v149, v132, v146
	v_fmac_f32_e32 v121, v110, v123
	v_mul_f32_e32 v151, v26, v145
	v_fmac_f32_e32 v151, v119, v144
	v_fmac_f32_e32 v124, v86, v125
	s_movk_i32 s10, 0x2000
	s_waitcnt vmcnt(8)
	v_mul_f32_e32 v4, v111, v153
	v_fma_f32 v128, v41, v152, -v4
	v_mul_f32_e32 v131, v41, v153
	ds_read2_b32 v[40:41], v97 offset0:76 offset1:125
	s_waitcnt lgkmcnt(1)
	v_mul_f32_e32 v4, v6, v155
	v_fma_f32 v132, v38, v154, -v4
	v_fmac_f32_e32 v131, v111, v152
	v_mul_f32_e32 v133, v38, v155
	s_waitcnt vmcnt(7)
	v_mul_f32_e32 v4, v7, v159
	v_fma_f32 v110, v39, v158, -v4
	s_waitcnt lgkmcnt(0)
	v_mul_f32_e32 v4, v40, v157
	v_mul_f32_e32 v111, v39, v159
	v_fma_f32 v113, v36, v156, -v4
	v_fmac_f32_e32 v133, v6, v154
	s_waitcnt vmcnt(6)
	v_mul_f32_e32 v4, v41, v161
	v_fmac_f32_e32 v111, v7, v158
	v_mul_f32_e32 v114, v36, v157
	v_fma_f32 v6, v37, v160, -v4
	v_mul_f32_e32 v7, v37, v161
	ds_read2_b32 v[36:37], v88 offset0:32 offset1:81
	v_mul_f32_e32 v4, v64, v163
	v_fma_f32 v85, v30, v162, -v4
	s_waitcnt vmcnt(5)
	v_mul_f32_e32 v4, v5, v1
	v_mul_f32_e32 v144, v35, v1
	v_fma_f32 v141, v35, v0, -v4
	v_fmac_f32_e32 v144, v5, v0
	s_waitcnt lgkmcnt(0)
	v_mul_f32_e32 v0, v36, v3
	v_fma_f32 v146, v32, v2, -v0
	ds_read2_b32 v[0:1], v74 offset0:122 offset1:171
	v_mul_f32_e32 v147, v32, v3
	v_fmac_f32_e32 v147, v36, v2
	s_waitcnt vmcnt(4)
	v_mul_f32_e32 v2, v37, v167
	v_mul_f32_e32 v126, v28, v165
	;; [unrolled: 1-line block ×3, first 2 shown]
	v_fma_f32 v119, v33, v166, -v2
	s_waitcnt lgkmcnt(0)
	v_mul_f32_e32 v2, v0, v165
	v_fmac_f32_e32 v126, v0, v164
	s_waitcnt vmcnt(2)
	v_mul_f32_e32 v0, v1, v169
	v_fmac_f32_e32 v86, v64, v162
	v_fma_f32 v64, v29, v168, -v0
	v_mul_f32_e32 v94, v29, v169
	v_mul_f32_e32 v0, v62, v171
	v_fmac_f32_e32 v94, v1, v168
	v_fma_f32 v106, v22, v170, -v0
	ds_read2_b32 v[0:1], v99 offset0:206 offset1:255
	v_fma_f32 v125, v28, v164, -v2
	v_mul_f32_e32 v2, v120, v173
	v_fma_f32 v152, v27, v172, -v2
	v_mul_f32_e32 v155, v24, v175
	s_waitcnt lgkmcnt(0)
	v_mul_f32_e32 v2, v0, v175
	v_fma_f32 v154, v24, v174, -v2
	ds_read2_b32 v[2:3], v89 offset0:168 offset1:217
	v_fmac_f32_e32 v155, v0, v174
	s_waitcnt vmcnt(1)
	v_mul_f32_e32 v0, v1, v179
	v_fma_f32 v140, v25, v178, -v0
	v_mul_f32_e32 v143, v25, v179
	s_waitcnt lgkmcnt(0)
	v_mul_f32_e32 v0, v2, v177
	v_fma_f32 v142, v20, v176, -v0
	ds_read_b32 v0, v17 offset:9408
	v_mul_f32_e32 v153, v27, v173
	v_fmac_f32_e32 v143, v1, v178
	v_mul_f32_e32 v145, v20, v177
	s_waitcnt vmcnt(0)
	v_mul_f32_e32 v1, v3, v45
	v_mul_f32_e32 v129, v68, v47
	v_fmac_f32_e32 v153, v120, v172
	v_fmac_f32_e32 v145, v2, v176
	v_fma_f32 v117, v21, v44, -v1
	v_mul_f32_e32 v120, v21, v45
	s_waitcnt lgkmcnt(0)
	v_mul_f32_e32 v1, v0, v47
	v_fmac_f32_e32 v129, v0, v46
	v_add_f32_e32 v0, v66, v61
	v_add_f32_e32 v2, v49, v60
	v_fmac_f32_e32 v120, v3, v44
	v_add_f32_e32 v3, v69, v59
	v_add_f32_e32 v4, v2, v0
	v_sub_f32_e32 v20, v2, v0
	v_sub_f32_e32 v0, v0, v3
	v_sub_f32_e32 v21, v3, v2
	v_add_f32_e32 v2, v3, v4
	v_sub_f32_e32 v3, v58, v23
	v_sub_f32_e32 v4, v54, v31
	v_fma_f32 v127, v68, v46, -v1
	v_sub_f32_e32 v1, v67, v52
	v_sub_f32_e32 v28, v4, v3
	v_mul_f32_e32 v0, 0x3f4a47b2, v0
	v_sub_f32_e32 v25, v3, v1
	v_add_f32_e32 v26, v14, v2
	v_mul_f32_e32 v14, 0xbf08b237, v28
	v_fma_f32 v28, v20, s6, -v0
	v_fmac_f32_e32 v0, 0x3d64c772, v21
	v_mul_f32_e32 v21, 0x3d64c772, v21
	v_mul_f32_e32 v108, v22, v171
	v_add_f32_e32 v5, v4, v3
	v_sub_f32_e32 v22, v1, v4
	v_mov_b32_e32 v27, v26
	v_fma_f32 v20, v20, s5, -v21
	v_mul_f32_e32 v21, 0x3f5ff5aa, v25
	v_add_f32_e32 v24, v5, v1
	v_fmac_f32_e32 v27, 0xbf955555, v2
	v_fma_f32 v29, v25, s4, -v14
	v_fma_f32 v21, v22, s7, -v21
	v_fmac_f32_e32 v14, 0x3eae86e6, v22
	v_add_f32_e32 v20, v20, v27
	v_add_f32_e32 v22, v28, v27
	v_fmac_f32_e32 v29, 0x3ee1c552, v24
	v_fmac_f32_e32 v21, 0x3ee1c552, v24
	;; [unrolled: 1-line block ×3, first 2 shown]
	v_add_f32_e32 v24, v21, v22
	v_sub_f32_e32 v25, v20, v29
	v_add_f32_e32 v20, v29, v20
	v_sub_f32_e32 v21, v22, v21
	v_add_f32_e32 v30, v0, v27
	ds_read2_b32 v[4:5], v17 offset1:49
	ds_read2_b32 v[2:3], v17 offset0:98 offset1:147
	ds_read2_b32 v[0:1], v17 offset0:196 offset1:245
	s_waitcnt lgkmcnt(0)
	; wave barrier
	s_waitcnt lgkmcnt(0)
	ds_write2_b32 v17, v20, v21 offset0:196 offset1:245
	v_add_f32_e32 v20, v72, v82
	v_add_f32_e32 v21, v9, v80
	;; [unrolled: 1-line block ×3, first 2 shown]
	ds_write2_b32 v17, v24, v25 offset0:98 offset1:147
	v_add_f32_e32 v22, v78, v63
	v_add_f32_e32 v24, v21, v20
	ds_write2_b32 v17, v26, v32 offset1:49
	v_sub_f32_e32 v25, v21, v20
	v_sub_f32_e32 v20, v20, v22
	;; [unrolled: 1-line block ×3, first 2 shown]
	v_add_f32_e32 v22, v22, v24
	v_sub_f32_e32 v24, v75, v83
	v_sub_f32_e32 v26, v71, v81
	v_sub_f32_e32 v27, v76, v79
	v_sub_f32_e32 v14, v30, v14
	v_add_f32_e32 v28, v27, v26
	v_sub_f32_e32 v29, v27, v26
	v_sub_f32_e32 v26, v26, v24
	v_add_f32_e32 v15, v15, v22
	v_sub_f32_e32 v27, v24, v27
	ds_write2_b32 v100, v14, v15 offset0:38 offset1:87
	v_fmac_f32_e32 v15, 0xbf955555, v22
	v_mul_f32_e32 v14, 0xbf08b237, v29
	v_mul_f32_e32 v22, 0x3f5ff5aa, v26
	;; [unrolled: 1-line block ×3, first 2 shown]
	v_fma_f32 v26, v26, s4, -v14
	v_fmac_f32_e32 v14, 0x3eae86e6, v27
	v_fma_f32 v22, v27, s7, -v22
	v_fma_f32 v27, v25, s6, -v20
	v_fmac_f32_e32 v20, 0x3d64c772, v21
	v_mul_f32_e32 v21, 0x3d64c772, v21
	v_add_f32_e32 v24, v28, v24
	v_fma_f32 v21, v25, s5, -v21
	v_add_f32_e32 v20, v20, v15
	v_add_f32_e32 v27, v27, v15
	;; [unrolled: 1-line block ×3, first 2 shown]
	v_fmac_f32_e32 v26, 0x3ee1c552, v24
	v_fmac_f32_e32 v14, 0x3ee1c552, v24
	;; [unrolled: 1-line block ×3, first 2 shown]
	v_sub_f32_e32 v21, v15, v26
	v_add_f32_e32 v15, v26, v15
	v_add_f32_e32 v28, v14, v20
	ds_write2_b32 v87, v21, v15 offset0:106 offset1:155
	v_sub_f32_e32 v15, v27, v22
	v_sub_f32_e32 v14, v20, v14
	ds_write2_b32 v97, v15, v14 offset0:76 offset1:125
	v_add_f32_e32 v14, v91, v134
	v_add_f32_e32 v15, v93, v118
	;; [unrolled: 1-line block ×4, first 2 shown]
	v_sub_f32_e32 v24, v105, v130
	v_sub_f32_e32 v25, v116, v109
	v_add_f32_e32 v29, v22, v27
	v_sub_f32_e32 v22, v15, v14
	v_sub_f32_e32 v14, v14, v20
	;; [unrolled: 1-line block ×3, first 2 shown]
	v_add_f32_e32 v20, v20, v21
	v_sub_f32_e32 v21, v92, v136
	v_add_f32_e32 v26, v25, v24
	v_sub_f32_e32 v27, v25, v24
	v_sub_f32_e32 v25, v21, v25
	;; [unrolled: 1-line block ×3, first 2 shown]
	v_add_f32_e32 v21, v26, v21
	v_add_f32_e32 v26, v12, v20
	ds_write2_b32 v100, v28, v29 offset0:136 offset1:185
	v_mov_b32_e32 v28, v26
	v_mul_f32_e32 v12, 0x3f4a47b2, v14
	v_fmac_f32_e32 v28, 0xbf955555, v20
	v_mul_f32_e32 v20, 0xbf08b237, v27
	v_fma_f32 v27, v22, s6, -v12
	v_fmac_f32_e32 v12, 0x3d64c772, v15
	v_mul_f32_e32 v15, 0x3d64c772, v15
	v_fma_f32 v29, v24, s4, -v20
	v_fmac_f32_e32 v20, 0x3eae86e6, v25
	v_fma_f32 v15, v22, s5, -v15
	v_mul_f32_e32 v22, 0x3f5ff5aa, v24
	v_add_f32_e32 v30, v12, v28
	v_fmac_f32_e32 v20, 0x3ee1c552, v21
	v_lshl_add_u32 v12, v70, 2, 0
	v_fma_f32 v22, v25, s7, -v22
	v_add_f32_e32 v32, v20, v30
	v_add_u32_e32 v14, 0x800, v12
	v_add_f32_e32 v24, v15, v28
	v_add_f32_e32 v25, v27, v28
	v_fmac_f32_e32 v29, 0x3ee1c552, v21
	v_fmac_f32_e32 v22, 0x3ee1c552, v21
	ds_write2_b32 v14, v26, v32 offset0:174 offset1:223
	v_add_f32_e32 v21, v22, v25
	v_sub_f32_e32 v26, v24, v29
	v_add_u32_e32 v15, 0xc00, v12
	ds_write2_b32 v15, v21, v26 offset0:16 offset1:65
	v_add_f32_e32 v21, v29, v24
	v_sub_f32_e32 v22, v25, v22
	ds_write2_b32 v15, v21, v22 offset0:114 offset1:163
	v_add_f32_e32 v21, v112, v148
	v_add_f32_e32 v22, v122, v150
	;; [unrolled: 1-line block ×4, first 2 shown]
	v_sub_f32_e32 v27, v124, v151
	v_sub_f32_e32 v28, v137, v139
	;; [unrolled: 1-line block ×5, first 2 shown]
	v_add_f32_e32 v24, v24, v25
	v_sub_f32_e32 v25, v121, v149
	v_add_f32_e32 v29, v28, v27
	v_sub_f32_e32 v32, v28, v27
	v_sub_f32_e32 v28, v25, v28
	;; [unrolled: 1-line block ×3, first 2 shown]
	v_add_f32_e32 v25, v29, v25
	v_add_f32_e32 v29, v13, v24
	v_mul_f32_e32 v123, v33, v167
	v_mov_b32_e32 v33, v29
	v_mul_f32_e32 v13, 0x3f4a47b2, v21
	v_fmac_f32_e32 v33, 0xbf955555, v24
	v_fma_f32 v24, v26, s6, -v13
	v_fmac_f32_e32 v13, 0x3d64c772, v22
	v_mul_f32_e32 v22, 0x3d64c772, v22
	v_mul_f32_e32 v21, 0xbf08b237, v32
	v_fma_f32 v22, v26, s5, -v22
	v_mul_f32_e32 v26, 0x3f5ff5aa, v27
	v_fma_f32 v32, v27, s4, -v21
	v_fma_f32 v26, v28, s7, -v26
	v_fmac_f32_e32 v21, 0x3eae86e6, v28
	v_add_f32_e32 v34, v13, v33
	v_lshl_add_u32 v13, v84, 2, 0
	v_add_f32_e32 v22, v22, v33
	v_add_f32_e32 v24, v24, v33
	v_fmac_f32_e32 v32, 0x3ee1c552, v25
	v_fmac_f32_e32 v26, 0x3ee1c552, v25
	;; [unrolled: 1-line block ×3, first 2 shown]
	v_add_u32_e32 v84, 0x1000, v13
	v_add_f32_e32 v25, v26, v24
	v_sub_f32_e32 v27, v22, v32
	v_add_f32_e32 v22, v32, v22
	v_sub_f32_e32 v24, v24, v26
	v_add_f32_e32 v35, v21, v34
	ds_write2_b32 v84, v22, v24 offset0:201 offset1:250
	v_add_f32_e32 v22, v128, v154
	v_add_f32_e32 v24, v132, v152
	ds_write2_b32 v84, v29, v35 offset0:5 offset1:54
	ds_write2_b32 v84, v25, v27 offset0:103 offset1:152
	v_add_f32_e32 v25, v141, v146
	v_add_f32_e32 v26, v24, v22
	v_sub_f32_e32 v28, v133, v153
	v_sub_f32_e32 v29, v147, v144
	;; [unrolled: 1-line block ×5, first 2 shown]
	v_add_f32_e32 v25, v25, v26
	v_sub_f32_e32 v26, v131, v155
	v_add_f32_e32 v32, v29, v28
	v_sub_f32_e32 v33, v29, v28
	v_sub_f32_e32 v29, v26, v29
	;; [unrolled: 1-line block ×3, first 2 shown]
	v_add_f32_e32 v26, v32, v26
	v_add_f32_e32 v32, v10, v25
	v_mov_b32_e32 v35, v32
	v_mul_f32_e32 v10, 0x3f4a47b2, v22
	v_fmac_f32_e32 v35, 0xbf955555, v25
	v_fma_f32 v25, v27, s6, -v10
	v_fmac_f32_e32 v10, 0x3d64c772, v24
	v_mul_f32_e32 v24, 0x3d64c772, v24
	v_mul_f32_e32 v22, 0xbf08b237, v33
	v_fma_f32 v24, v27, s5, -v24
	v_mul_f32_e32 v27, 0x3f5ff5aa, v28
	v_fma_f32 v33, v28, s4, -v22
	v_fma_f32 v27, v29, s7, -v27
	v_fmac_f32_e32 v22, 0x3eae86e6, v29
	v_add_f32_e32 v36, v10, v35
	v_lshl_add_u32 v10, v50, 2, 0
	v_add_f32_e32 v24, v24, v35
	v_add_f32_e32 v25, v25, v35
	v_fmac_f32_e32 v33, 0x3ee1c552, v26
	v_fmac_f32_e32 v27, 0x3ee1c552, v26
	;; [unrolled: 1-line block ×3, first 2 shown]
	v_add_f32_e32 v26, v27, v25
	v_sub_f32_e32 v28, v24, v33
	v_add_f32_e32 v24, v33, v24
	v_sub_f32_e32 v25, v25, v27
	v_add_u32_e32 v157, 0x1800, v10
	v_fmac_f32_e32 v114, v40, v156
	v_fmac_f32_e32 v123, v37, v166
	v_add_f32_e32 v37, v22, v36
	v_add_u32_e32 v156, 0x1400, v10
	ds_write2_b32 v157, v24, v25 offset0:32 offset1:81
	v_add_f32_e32 v24, v113, v140
	v_add_f32_e32 v25, v110, v142
	ds_write2_b32 v156, v32, v37 offset0:92 offset1:141
	ds_write2_b32 v156, v26, v28 offset0:190 offset1:239
	v_add_f32_e32 v26, v125, v119
	v_add_f32_e32 v27, v25, v24
	v_sub_f32_e32 v29, v111, v145
	v_sub_f32_e32 v32, v123, v126
	v_sub_f32_e32 v28, v25, v24
	v_sub_f32_e32 v24, v24, v26
	v_sub_f32_e32 v25, v26, v25
	v_add_f32_e32 v26, v26, v27
	v_sub_f32_e32 v27, v114, v143
	v_add_f32_e32 v33, v32, v29
	v_sub_f32_e32 v35, v32, v29
	v_sub_f32_e32 v32, v27, v32
	;; [unrolled: 1-line block ×3, first 2 shown]
	v_add_f32_e32 v27, v33, v27
	v_add_f32_e32 v33, v11, v26
	v_mov_b32_e32 v37, v33
	v_mul_f32_e32 v11, 0x3f4a47b2, v24
	v_fmac_f32_e32 v37, 0xbf955555, v26
	v_fma_f32 v26, v28, s6, -v11
	v_fmac_f32_e32 v11, 0x3d64c772, v25
	v_mul_f32_e32 v25, 0x3d64c772, v25
	v_mul_f32_e32 v24, 0xbf08b237, v35
	v_fma_f32 v25, v28, s5, -v25
	v_mul_f32_e32 v28, 0x3f5ff5aa, v29
	v_fma_f32 v35, v29, s4, -v24
	v_fma_f32 v28, v32, s7, -v28
	v_fmac_f32_e32 v24, 0x3eae86e6, v32
	v_add_f32_e32 v38, v11, v37
	v_lshl_add_u32 v11, v56, 2, 0
	v_add_f32_e32 v25, v25, v37
	v_add_f32_e32 v26, v26, v37
	v_fmac_f32_e32 v35, 0x3ee1c552, v27
	v_fmac_f32_e32 v28, 0x3ee1c552, v27
	;; [unrolled: 1-line block ×3, first 2 shown]
	v_add_f32_e32 v27, v28, v26
	v_sub_f32_e32 v29, v25, v35
	v_add_u32_e32 v159, 0x1c00, v11
	v_add_f32_e32 v25, v35, v25
	v_sub_f32_e32 v26, v26, v28
	v_fmac_f32_e32 v108, v62, v170
	v_add_f32_e32 v39, v24, v38
	v_add_u32_e32 v158, 0x1800, v11
	ds_write2_b32 v159, v25, v26 offset0:119 offset1:168
	v_add_f32_e32 v25, v6, v127
	v_add_f32_e32 v26, v85, v117
	v_fmac_f32_e32 v7, v41, v160
	ds_write2_b32 v158, v33, v39 offset0:179 offset1:228
	ds_write2_b32 v159, v27, v29 offset0:21 offset1:70
	v_add_f32_e32 v27, v64, v106
	v_add_f32_e32 v28, v26, v25
	v_sub_f32_e32 v32, v86, v120
	v_sub_f32_e32 v33, v108, v94
	;; [unrolled: 1-line block ×5, first 2 shown]
	v_add_f32_e32 v27, v27, v28
	v_sub_f32_e32 v28, v7, v129
	v_add_f32_e32 v35, v33, v32
	v_sub_f32_e32 v37, v33, v32
	v_sub_f32_e32 v33, v28, v33
	;; [unrolled: 1-line block ×3, first 2 shown]
	v_add_f32_e32 v28, v35, v28
	v_add_f32_e32 v35, v8, v27
	v_mov_b32_e32 v39, v35
	v_mul_f32_e32 v8, 0x3f4a47b2, v25
	v_fmac_f32_e32 v39, 0xbf955555, v27
	v_fma_f32 v27, v29, s6, -v8
	v_fmac_f32_e32 v8, 0x3d64c772, v26
	v_mul_f32_e32 v26, 0x3d64c772, v26
	v_mul_f32_e32 v25, 0xbf08b237, v37
	v_fma_f32 v26, v29, s5, -v26
	v_mul_f32_e32 v29, 0x3f5ff5aa, v32
	v_fma_f32 v37, v32, s4, -v25
	v_fma_f32 v29, v33, s7, -v29
	v_fmac_f32_e32 v25, 0x3eae86e6, v33
	v_add_f32_e32 v40, v8, v39
	v_lshl_add_u32 v8, v57, 2, 0
	v_add_f32_e32 v26, v26, v39
	v_add_f32_e32 v27, v27, v39
	v_fmac_f32_e32 v37, 0x3ee1c552, v28
	v_fmac_f32_e32 v29, 0x3ee1c552, v28
	;; [unrolled: 1-line block ×3, first 2 shown]
	v_add_u32_e32 v160, 0x2000, v8
	v_add_f32_e32 v28, v29, v27
	v_sub_f32_e32 v32, v26, v37
	v_add_f32_e32 v26, v37, v26
	v_sub_f32_e32 v27, v27, v29
	ds_write2_b32 v160, v26, v27 offset0:206 offset1:255
	v_add_f32_e32 v26, v67, v52
	v_add_f32_e32 v23, v58, v23
	ds_write2_b32 v160, v28, v32 offset0:108 offset1:157
	v_add_f32_e32 v29, v31, v54
	v_add_f32_e32 v32, v23, v26
	v_sub_f32_e32 v28, v49, v60
	v_sub_f32_e32 v31, v59, v69
	;; [unrolled: 1-line block ×4, first 2 shown]
	v_add_f32_e32 v23, v29, v32
	v_add_f32_e32 v41, v25, v40
	v_sub_f32_e32 v27, v66, v61
	v_sub_f32_e32 v26, v26, v29
	;; [unrolled: 1-line block ×3, first 2 shown]
	v_add_f32_e32 v4, v4, v23
	v_sub_f32_e32 v20, v30, v20
	ds_write2_b32 v160, v35, v41 offset0:10 offset1:59
	v_add_f32_e32 v29, v31, v28
	v_sub_f32_e32 v163, v27, v31
	v_sub_f32_e32 v164, v28, v27
	v_mov_b32_e32 v166, v4
	v_sub_f32_e32 v21, v34, v21
	ds_write_b32 v12, v20 offset:3920
	ds_write_b32 v13, v21 offset:5292
	v_mul_f32_e32 v20, 0x3f4a47b2, v26
	v_mul_f32_e32 v167, 0xbf08b237, v32
	v_add_f32_e32 v165, v29, v27
	v_fmac_f32_e32 v166, 0xbf955555, v23
	v_fma_f32 v168, v161, s6, -v20
	v_fmac_f32_e32 v20, 0x3d64c772, v162
	v_fma_f32 v169, v164, s4, -v167
	v_fmac_f32_e32 v167, 0x3eae86e6, v163
	v_add_f32_e32 v170, v20, v166
	v_fmac_f32_e32 v167, 0x3ee1c552, v165
	v_sub_f32_e32 v22, v36, v22
	v_sub_f32_e32 v23, v38, v24
	;; [unrolled: 1-line block ×4, first 2 shown]
	ds_write_b32 v10, v22 offset:6664
	ds_write_b32 v11, v23 offset:8036
	;; [unrolled: 1-line block ×3, first 2 shown]
	s_waitcnt lgkmcnt(0)
	; wave barrier
	s_waitcnt lgkmcnt(0)
	ds_read_b32 v90, v17 offset:9408
	ds_read2_b32 v[20:21], v17 offset1:49
	ds_read2_b32 v[30:31], v100 offset0:38 offset1:87
	ds_read2_b32 v[22:23], v97 offset0:174 offset1:223
	;; [unrolled: 1-line block ×23, first 2 shown]
	s_waitcnt lgkmcnt(0)
	; wave barrier
	s_waitcnt lgkmcnt(0)
	ds_write2_b32 v17, v4, v171 offset1:49
	v_mul_f32_e32 v4, 0x3d64c772, v162
	v_fma_f32 v4, v161, s5, -v4
	v_mul_f32_e32 v161, 0x3f5ff5aa, v164
	v_fma_f32 v161, v163, s7, -v161
	v_add_f32_e32 v4, v4, v166
	v_add_f32_e32 v162, v168, v166
	v_fmac_f32_e32 v169, 0x3ee1c552, v165
	v_fmac_f32_e32 v161, 0x3ee1c552, v165
	v_sub_f32_e32 v163, v162, v161
	v_add_f32_e32 v164, v169, v4
	v_sub_f32_e32 v4, v4, v169
	v_add_f32_e32 v161, v161, v162
	ds_write2_b32 v17, v4, v161 offset0:196 offset1:245
	v_add_f32_e32 v4, v75, v83
	v_add_f32_e32 v71, v71, v81
	;; [unrolled: 1-line block ×4, first 2 shown]
	v_sub_f32_e32 v63, v63, v78
	v_sub_f32_e32 v78, v71, v4
	v_sub_f32_e32 v4, v4, v75
	v_sub_f32_e32 v71, v75, v71
	v_add_f32_e32 v75, v75, v76
	v_sub_f32_e32 v9, v9, v80
	v_add_f32_e32 v162, v5, v75
	v_sub_f32_e32 v72, v72, v82
	;; [unrolled: 2-line block ×3, first 2 shown]
	v_mov_b32_e32 v5, v162
	v_mul_f32_e32 v4, 0x3f4a47b2, v4
	v_sub_f32_e32 v63, v72, v63
	v_sub_f32_e32 v9, v9, v72
	v_add_f32_e32 v72, v76, v72
	v_fmac_f32_e32 v5, 0xbf955555, v75
	v_mul_f32_e32 v75, 0x3d64c772, v71
	v_fma_f32 v76, v78, s6, -v4
	v_fmac_f32_e32 v4, 0x3d64c772, v71
	v_mul_f32_e32 v71, 0xbf08b237, v79
	v_fma_f32 v75, v78, s5, -v75
	v_mul_f32_e32 v78, 0x3f5ff5aa, v9
	v_fma_f32 v9, v9, s4, -v71
	v_fmac_f32_e32 v71, 0x3eae86e6, v63
	v_add_f32_e32 v4, v4, v5
	v_add_f32_e32 v75, v75, v5
	v_fmac_f32_e32 v71, 0x3ee1c552, v72
	v_fmac_f32_e32 v9, 0x3ee1c552, v72
	ds_write2_b32 v17, v163, v164 offset0:98 offset1:147
	v_add_f32_e32 v161, v167, v170
	v_fma_f32 v63, v63, s7, -v78
	v_add_f32_e32 v163, v9, v75
	v_sub_f32_e32 v164, v75, v9
	v_sub_f32_e32 v167, v4, v71
	v_add_f32_e32 v168, v71, v4
	v_add_f32_e32 v4, v92, v136
	;; [unrolled: 1-line block ×4, first 2 shown]
	v_fmac_f32_e32 v63, 0x3ee1c552, v72
	v_add_f32_e32 v71, v109, v116
	v_add_f32_e32 v75, v9, v4
	v_sub_f32_e32 v165, v5, v63
	v_add_f32_e32 v166, v63, v5
	v_sub_f32_e32 v63, v93, v118
	v_sub_f32_e32 v72, v115, v107
	;; [unrolled: 1-line block ×5, first 2 shown]
	v_add_f32_e32 v71, v71, v75
	v_sub_f32_e32 v5, v91, v134
	v_add_f32_e32 v75, v72, v63
	v_add_f32_e32 v2, v2, v71
	v_sub_f32_e32 v78, v72, v63
	v_sub_f32_e32 v72, v5, v72
	;; [unrolled: 1-line block ×3, first 2 shown]
	v_add_f32_e32 v5, v75, v5
	v_mov_b32_e32 v75, v2
	v_fmac_f32_e32 v75, 0xbf955555, v71
	v_mul_f32_e32 v4, 0x3f4a47b2, v4
	v_mul_f32_e32 v71, 0x3d64c772, v9
	v_fma_f32 v71, v76, s5, -v71
	v_fma_f32 v76, v76, s6, -v4
	v_fmac_f32_e32 v4, 0x3d64c772, v9
	v_mul_f32_e32 v78, 0xbf08b237, v78
	v_mul_f32_e32 v9, 0x3f5ff5aa, v63
	v_fma_f32 v63, v63, s4, -v78
	v_fmac_f32_e32 v78, 0x3eae86e6, v72
	v_fma_f32 v72, v72, s7, -v9
	v_add_f32_e32 v79, v4, v75
	v_add_f32_e32 v9, v71, v75
	;; [unrolled: 1-line block ×3, first 2 shown]
	v_fmac_f32_e32 v78, 0x3ee1c552, v5
	v_fmac_f32_e32 v63, 0x3ee1c552, v5
	v_fmac_f32_e32 v72, 0x3ee1c552, v5
	v_add_f32_e32 v4, v63, v9
	v_sub_f32_e32 v5, v9, v63
	v_sub_f32_e32 v9, v71, v72
	v_add_f32_e32 v63, v72, v71
	v_sub_f32_e32 v72, v79, v78
	v_add_f32_e32 v71, v78, v79
	v_add_f32_e32 v75, v121, v149
	;; [unrolled: 1-line block ×5, first 2 shown]
	v_sub_f32_e32 v79, v122, v150
	v_sub_f32_e32 v81, v135, v138
	;; [unrolled: 1-line block ×5, first 2 shown]
	v_add_f32_e32 v80, v80, v82
	v_sub_f32_e32 v76, v112, v148
	v_add_f32_e32 v82, v81, v79
	v_add_f32_e32 v3, v3, v80
	v_sub_f32_e32 v91, v81, v79
	v_sub_f32_e32 v81, v76, v81
	;; [unrolled: 1-line block ×3, first 2 shown]
	v_add_f32_e32 v76, v82, v76
	v_mov_b32_e32 v82, v3
	v_fmac_f32_e32 v82, 0xbf955555, v80
	v_mul_f32_e32 v75, 0x3f4a47b2, v75
	v_mul_f32_e32 v80, 0x3d64c772, v78
	v_fma_f32 v80, v83, s5, -v80
	v_fma_f32 v83, v83, s6, -v75
	v_fmac_f32_e32 v75, 0x3d64c772, v78
	v_mul_f32_e32 v91, 0xbf08b237, v91
	v_mul_f32_e32 v78, 0x3f5ff5aa, v79
	v_fma_f32 v79, v79, s4, -v91
	v_fmac_f32_e32 v91, 0x3eae86e6, v81
	v_fma_f32 v81, v81, s7, -v78
	v_add_f32_e32 v92, v75, v82
	v_add_f32_e32 v78, v80, v82
	;; [unrolled: 1-line block ×3, first 2 shown]
	v_fmac_f32_e32 v91, 0x3ee1c552, v76
	v_fmac_f32_e32 v79, 0x3ee1c552, v76
	;; [unrolled: 1-line block ×3, first 2 shown]
	v_add_f32_e32 v75, v79, v78
	v_sub_f32_e32 v76, v78, v79
	v_sub_f32_e32 v78, v80, v81
	v_add_f32_e32 v79, v81, v80
	v_sub_f32_e32 v81, v92, v91
	v_add_f32_e32 v80, v91, v92
	v_add_f32_e32 v82, v131, v155
	;; [unrolled: 1-line block ×5, first 2 shown]
	v_sub_f32_e32 v92, v132, v152
	v_sub_f32_e32 v105, v146, v141
	;; [unrolled: 1-line block ×5, first 2 shown]
	v_add_f32_e32 v93, v93, v107
	v_sub_f32_e32 v83, v128, v154
	v_add_f32_e32 v107, v105, v92
	v_add_f32_e32 v0, v0, v93
	v_sub_f32_e32 v112, v105, v92
	v_sub_f32_e32 v105, v83, v105
	;; [unrolled: 1-line block ×3, first 2 shown]
	v_add_f32_e32 v83, v107, v83
	v_mov_b32_e32 v107, v0
	v_fmac_f32_e32 v107, 0xbf955555, v93
	v_mul_f32_e32 v82, 0x3f4a47b2, v82
	v_mul_f32_e32 v93, 0x3d64c772, v91
	v_fma_f32 v93, v109, s5, -v93
	v_fma_f32 v109, v109, s6, -v82
	v_fmac_f32_e32 v82, 0x3d64c772, v91
	v_mul_f32_e32 v112, 0xbf08b237, v112
	v_mul_f32_e32 v91, 0x3f5ff5aa, v92
	v_fma_f32 v92, v92, s4, -v112
	v_fmac_f32_e32 v112, 0x3eae86e6, v105
	v_fma_f32 v105, v105, s7, -v91
	v_add_f32_e32 v115, v82, v107
	v_add_f32_e32 v91, v93, v107
	;; [unrolled: 1-line block ×3, first 2 shown]
	v_fmac_f32_e32 v112, 0x3ee1c552, v83
	v_fmac_f32_e32 v92, 0x3ee1c552, v83
	;; [unrolled: 1-line block ×3, first 2 shown]
	v_add_f32_e32 v107, v114, v143
	v_add_f32_e32 v111, v111, v145
	;; [unrolled: 1-line block ×3, first 2 shown]
	v_sub_f32_e32 v83, v91, v92
	v_sub_f32_e32 v91, v93, v105
	v_add_f32_e32 v92, v105, v93
	v_sub_f32_e32 v105, v115, v112
	v_add_f32_e32 v93, v112, v115
	v_add_f32_e32 v112, v126, v123
	;; [unrolled: 1-line block ×3, first 2 shown]
	v_sub_f32_e32 v109, v113, v140
	v_sub_f32_e32 v110, v110, v142
	;; [unrolled: 1-line block ×6, first 2 shown]
	v_add_f32_e32 v112, v112, v114
	v_add_f32_e32 v114, v113, v110
	;; [unrolled: 1-line block ×5, first 2 shown]
	v_sub_f32_e32 v116, v113, v110
	v_sub_f32_e32 v113, v109, v113
	;; [unrolled: 1-line block ×3, first 2 shown]
	v_add_f32_e32 v109, v114, v109
	v_mov_b32_e32 v114, v1
	v_add_f32_e32 v94, v94, v108
	v_sub_f32_e32 v64, v106, v64
	v_add_f32_e32 v106, v86, v7
	v_fmac_f32_e32 v114, 0xbf955555, v112
	v_mul_f32_e32 v107, 0x3f4a47b2, v107
	v_mul_f32_e32 v112, 0x3d64c772, v111
	v_sub_f32_e32 v85, v85, v117
	v_sub_f32_e32 v108, v86, v7
	;; [unrolled: 1-line block ×4, first 2 shown]
	v_add_f32_e32 v94, v94, v106
	v_fma_f32 v112, v115, s5, -v112
	v_fma_f32 v115, v115, s6, -v107
	v_fmac_f32_e32 v107, 0x3d64c772, v111
	v_mul_f32_e32 v116, 0xbf08b237, v116
	v_mul_f32_e32 v111, 0x3f5ff5aa, v110
	v_sub_f32_e32 v6, v6, v127
	v_add_f32_e32 v106, v64, v85
	v_add_f32_e32 v48, v48, v94
	v_fma_f32 v110, v110, s4, -v116
	v_fmac_f32_e32 v116, 0x3eae86e6, v113
	v_fma_f32 v111, v113, s7, -v111
	v_add_f32_e32 v118, v107, v114
	v_add_f32_e32 v112, v112, v114
	;; [unrolled: 1-line block ×3, first 2 shown]
	v_sub_f32_e32 v114, v64, v85
	v_sub_f32_e32 v64, v6, v64
	;; [unrolled: 1-line block ×3, first 2 shown]
	v_add_f32_e32 v6, v106, v6
	v_mov_b32_e32 v106, v48
	v_fmac_f32_e32 v106, 0xbf955555, v94
	v_mul_f32_e32 v7, 0x3f4a47b2, v7
	v_mul_f32_e32 v94, 0x3d64c772, v86
	v_fma_f32 v94, v108, s5, -v94
	v_fma_f32 v108, v108, s6, -v7
	v_fmac_f32_e32 v7, 0x3d64c772, v86
	v_mul_f32_e32 v86, 0xbf08b237, v114
	v_mul_f32_e32 v114, 0x3f5ff5aa, v85
	v_fma_f32 v85, v85, s4, -v86
	v_fmac_f32_e32 v86, 0x3eae86e6, v64
	v_fma_f32 v64, v64, s7, -v114
	v_fmac_f32_e32 v116, 0x3ee1c552, v109
	v_fmac_f32_e32 v110, 0x3ee1c552, v109
	;; [unrolled: 1-line block ×3, first 2 shown]
	v_add_f32_e32 v7, v7, v106
	v_add_f32_e32 v94, v94, v106
	;; [unrolled: 1-line block ×3, first 2 shown]
	v_fmac_f32_e32 v86, 0x3ee1c552, v6
	v_fmac_f32_e32 v85, 0x3ee1c552, v6
	;; [unrolled: 1-line block ×3, first 2 shown]
	v_add_f32_e32 v107, v110, v112
	v_sub_f32_e32 v109, v112, v110
	v_sub_f32_e32 v110, v113, v111
	v_add_f32_e32 v111, v111, v113
	v_sub_f32_e32 v113, v118, v116
	v_add_f32_e32 v112, v116, v118
	v_add_f32_e32 v6, v85, v94
	v_sub_f32_e32 v85, v94, v85
	v_sub_f32_e32 v94, v106, v64
	v_add_f32_e32 v64, v64, v106
	v_sub_f32_e32 v106, v7, v86
	v_add_f32_e32 v7, v86, v7
	ds_write2_b32 v100, v161, v162 offset0:38 offset1:87
	ds_write2_b32 v100, v167, v165 offset0:136 offset1:185
	;; [unrolled: 1-line block ×7, first 2 shown]
	ds_write_b32 v12, v71 offset:3920
	ds_write2_b32 v84, v3, v81 offset0:5 offset1:54
	ds_write2_b32 v84, v78, v75 offset0:103 offset1:152
	ds_write2_b32 v84, v76, v79 offset0:201 offset1:250
	ds_write_b32 v13, v80 offset:5292
	ds_write2_b32 v156, v0, v105 offset0:92 offset1:141
	ds_write2_b32 v156, v91, v82 offset0:190 offset1:239
	ds_write2_b32 v157, v83, v92 offset0:32 offset1:81
	;; [unrolled: 4-line block ×4, first 2 shown]
	ds_write_b32 v8, v7 offset:9408
	s_waitcnt lgkmcnt(0)
	; wave barrier
	s_waitcnt lgkmcnt(0)
	s_and_saveexec_b64 s[12:13], s[0:1]
	s_cbranch_execz .LBB0_13
; %bb.12:
	v_mul_u32_u24_e32 v0, 6, v104
	v_lshlrev_b32_e32 v12, 3, v0
	global_load_dwordx4 v[0:3], v12, s[8:9] offset:2688
	global_load_dwordx4 v[4:7], v12, s[8:9] offset:2720
	;; [unrolled: 1-line block ×3, first 2 shown]
	v_mov_b32_e32 v12, 0xfffffeda
	v_mov_b32_e32 v64, 0
	v_mad_u32_u24 v63, v104, 6, v12
	v_mov_b32_e32 v105, s9
	v_add_co_u32_e32 v77, vcc, s8, v77
	v_lshlrev_b64 v[85:86], 3, v[63:64]
	v_addc_co_u32_e32 v78, vcc, 0, v105, vcc
	v_add_co_u32_e32 v85, vcc, s8, v85
	v_addc_co_u32_e32 v86, vcc, v105, v86, vcc
	ds_read2_b32 v[79:80], v97 offset0:76 offset1:125
	ds_read_b32 v48, v17 offset:9408
	ds_read2_b32 v[71:72], v88 offset0:130 offset1:179
	ds_read2_b32 v[81:82], v74 offset0:122 offset1:171
	;; [unrolled: 1-line block ×5, first 2 shown]
	global_load_dwordx4 v[12:15], v[77:78], off offset:2720
	global_load_dwordx4 v[91:94], v[85:86], off offset:2720
	;; [unrolled: 1-line block ×4, first 2 shown]
	ds_read2_b32 v[118:119], v99 offset0:206 offset1:255
	ds_read2_b32 v[120:121], v88 offset0:32 offset1:81
	;; [unrolled: 1-line block ×4, first 2 shown]
	s_movk_i32 s0, 0x3000
	s_movk_i32 s1, 0x4000
	s_waitcnt vmcnt(6) lgkmcnt(10)
	v_mul_f32_e32 v63, v1, v80
	s_waitcnt vmcnt(5) lgkmcnt(9)
	v_mul_f32_e32 v85, v7, v48
	;; [unrolled: 2-line block ×3, first 2 shown]
	s_waitcnt lgkmcnt(7)
	v_mul_f32_e32 v114, v9, v82
	s_waitcnt lgkmcnt(6)
	v_mul_f32_e32 v115, v3, v73
	;; [unrolled: 2-line block ×3, first 2 shown]
	v_mul_f32_e32 v48, v6, v48
	v_mul_f32_e32 v80, v0, v80
	v_mul_f32_e32 v82, v8, v82
	v_mul_f32_e32 v71, v10, v71
	v_mul_f32_e32 v84, v4, v84
	v_mul_f32_e32 v73, v2, v73
	v_fma_f32 v0, v70, v0, -v63
	v_fma_f32 v6, v90, v6, -v85
	v_fma_f32 v10, v24, v10, -v86
	v_fma_f32 v8, v68, v8, -v114
	v_fma_f32 v2, v28, v2, -v115
	v_fma_f32 v4, v66, v4, -v116
	v_fmac_f32_e32 v48, v90, v7
	v_fmac_f32_e32 v80, v70, v1
	;; [unrolled: 1-line block ×6, first 2 shown]
	v_sub_f32_e32 v5, v0, v6
	v_sub_f32_e32 v1, v10, v8
	;; [unrolled: 1-line block ×3, first 2 shown]
	v_add_f32_e32 v9, v80, v48
	v_add_f32_e32 v3, v71, v82
	;; [unrolled: 1-line block ×6, first 2 shown]
	v_sub_f32_e32 v8, v5, v1
	v_sub_f32_e32 v2, v1, v7
	v_add_f32_e32 v1, v1, v7
	v_sub_f32_e32 v24, v3, v11
	v_add_f32_e32 v28, v9, v11
	;; [unrolled: 2-line block ×3, first 2 shown]
	v_add_f32_e32 v85, v5, v1
	v_mul_f32_e32 v24, 0x3d64c772, v24
	v_add_f32_e32 v1, v3, v28
	v_sub_f32_e32 v10, v9, v3
	v_sub_f32_e32 v63, v6, v0
	v_mul_f32_e32 v66, 0x3d64c772, v66
	v_add_f32_e32 v0, v0, v68
	v_mov_b32_e32 v90, v24
	s_waitcnt lgkmcnt(4)
	v_add_f32_e32 v3, v75, v1
	v_mul_f32_e32 v70, 0xbf08b237, v2
	v_mul_f32_e32 v86, 0x3f4a47b2, v10
	v_mov_b32_e32 v75, v66
	v_add_f32_e32 v2, v30, v0
	v_fmac_f32_e32 v90, 0x3f4a47b2, v10
	v_mov_b32_e32 v10, v3
	v_sub_f32_e32 v7, v7, v5
	v_mul_f32_e32 v28, 0x3f4a47b2, v63
	v_mov_b32_e32 v68, v70
	v_fmac_f32_e32 v75, 0x3f4a47b2, v63
	v_fmac_f32_e32 v10, 0xbf955555, v1
	v_mov_b32_e32 v63, v2
	v_sub_f32_e32 v48, v80, v48
	v_sub_f32_e32 v73, v73, v84
	v_mul_f32_e32 v5, 0x3f5ff5aa, v7
	v_sub_f32_e32 v6, v4, v6
	v_fmac_f32_e32 v68, 0x3eae86e6, v8
	v_add_f32_e32 v30, v90, v10
	v_fmac_f32_e32 v63, 0xbf955555, v0
	v_sub_f32_e32 v0, v71, v82
	v_fma_f32 v90, v8, s7, -v5
	v_sub_f32_e32 v8, v11, v9
	v_fma_f32 v4, v6, s6, -v28
	v_sub_f32_e32 v9, v73, v48
	v_sub_f32_e32 v71, v48, v0
	;; [unrolled: 1-line block ×3, first 2 shown]
	v_add_f32_e32 v0, v0, v73
	v_fma_f32 v5, v8, s6, -v86
	v_add_f32_e32 v28, v4, v63
	v_mul_f32_e32 v4, 0x3f5ff5aa, v9
	v_fma_f32 v8, v8, s5, -v24
	v_mul_f32_e32 v80, 0xbf08b237, v80
	v_add_f32_e32 v84, v48, v0
	v_add_f32_e32 v11, v5, v10
	v_fma_f32 v48, v71, s7, -v4
	v_add_f32_e32 v8, v8, v10
	v_fma_f32 v10, v7, s4, -v70
	v_fmac_f32_e32 v48, 0x3ee1c552, v84
	v_fmac_f32_e32 v10, 0x3ee1c552, v85
	v_fma_f32 v24, v9, s4, -v80
	v_fma_f32 v6, v6, s5, -v66
	v_add_f32_e32 v75, v75, v63
	v_mov_b32_e32 v82, v80
	v_sub_f32_e32 v4, v28, v48
	v_sub_f32_e32 v7, v8, v10
	v_fmac_f32_e32 v24, 0x3ee1c552, v84
	v_add_f32_e32 v63, v6, v63
	v_add_f32_e32 v9, v10, v8
	;; [unrolled: 1-line block ×3, first 2 shown]
	v_mov_b32_e32 v28, 0xfffffdb4
	v_fmac_f32_e32 v82, 0x3eae86e6, v71
	v_add_f32_e32 v6, v24, v63
	v_sub_f32_e32 v8, v63, v24
	v_mad_u32_u24 v63, v104, 6, v28
	v_fmac_f32_e32 v68, 0x3ee1c552, v85
	v_fmac_f32_e32 v82, 0x3ee1c552, v84
	v_fmac_f32_e32 v90, 0x3ee1c552, v85
	v_lshlrev_b64 v[84:85], 3, v[63:64]
	s_waitcnt vmcnt(2) lgkmcnt(3)
	v_mul_f32_e32 v28, v94, v119
	v_add_co_u32_e32 v84, vcc, s8, v84
	v_addc_co_u32_e32 v85, vcc, v105, v85, vcc
	s_waitcnt vmcnt(1) lgkmcnt(1)
	v_mul_f32_e32 v66, v109, v123
	v_mul_f32_e32 v119, v93, v119
	global_load_dwordx4 v[114:117], v[84:85], off offset:2688
	s_waitcnt vmcnt(1)
	v_mul_f32_e32 v48, v113, v121
	v_mul_f32_e32 v63, v111, v81
	v_fma_f32 v80, v58, v108, -v66
	v_mul_f32_e32 v66, v92, v83
	v_fmac_f32_e32 v119, v62, v94
	v_mul_f32_e32 v81, v110, v81
	v_mul_f32_e32 v94, v112, v121
	;; [unrolled: 1-line block ×3, first 2 shown]
	v_sub_f32_e32 v0, v75, v82
	v_add_f32_e32 v5, v90, v11
	v_sub_f32_e32 v11, v11, v90
	v_add_f32_e32 v70, v82, v75
	v_fma_f32 v28, v62, v93, -v28
	v_fma_f32 v48, v60, v112, -v48
	;; [unrolled: 1-line block ×4, first 2 shown]
	v_fmac_f32_e32 v81, v67, v111
	v_fmac_f32_e32 v94, v60, v113
	global_load_dwordx4 v[110:113], v[84:85], off offset:2720
	v_fmac_f32_e32 v83, v65, v92
	global_load_dwordx4 v[90:93], v[84:85], off offset:2704
	v_mul_f32_e32 v24, v107, v79
	v_mul_f32_e32 v65, v108, v123
	v_fma_f32 v24, v69, v106, -v24
	v_fmac_f32_e32 v65, v58, v109
	v_add_f32_e32 v1, v68, v30
	v_sub_f32_e32 v71, v30, v68
	v_sub_f32_e32 v30, v24, v28
	;; [unrolled: 1-line block ×4, first 2 shown]
	v_add_f32_e32 v60, v94, v81
	v_add_f32_e32 v58, v65, v83
	v_sub_f32_e32 v75, v30, v63
	v_sub_f32_e32 v66, v63, v86
	v_add_f32_e32 v63, v63, v86
	v_mul_f32_e32 v79, v106, v79
	v_sub_f32_e32 v62, v60, v58
	v_add_f32_e32 v124, v30, v63
	v_fmac_f32_e32 v79, v69, v107
	v_mul_f32_e32 v84, 0x3d64c772, v62
	ds_read2_b32 v[62:63], v17 offset0:196 offset1:245
	v_add_f32_e32 v69, v79, v119
	v_mul_f32_e32 v88, 0xbf08b237, v66
	v_sub_f32_e32 v66, v69, v60
	v_mov_b32_e32 v67, v84
	v_mul_f32_e32 v106, 0x3f4a47b2, v66
	v_fmac_f32_e32 v67, 0x3f4a47b2, v66
	v_add_f32_e32 v66, v69, v58
	v_add_f32_e32 v60, v60, v66
	s_waitcnt lgkmcnt(0)
	v_add_f32_e32 v68, v63, v60
	v_mov_b32_e32 v63, v68
	v_fmac_f32_e32 v63, 0xbf955555, v60
	v_add_f32_e32 v24, v24, v28
	v_add_f32_e32 v28, v48, v73
	;; [unrolled: 1-line block ×4, first 2 shown]
	v_sub_f32_e32 v67, v28, v82
	v_mul_f32_e32 v85, 0x3d64c772, v67
	v_sub_f32_e32 v48, v24, v28
	v_mov_b32_e32 v80, v85
	v_mul_f32_e32 v73, 0x3f4a47b2, v48
	v_fmac_f32_e32 v80, 0x3f4a47b2, v48
	v_add_f32_e32 v48, v24, v82
	v_mov_b32_e32 v125, v88
	v_add_f32_e32 v28, v28, v48
	v_fmac_f32_e32 v125, 0x3eae86e6, v75
	v_add_f32_e32 v67, v56, v28
	v_sub_f32_e32 v56, v79, v119
	v_sub_f32_e32 v79, v94, v81
	;; [unrolled: 1-line block ×3, first 2 shown]
	v_fmac_f32_e32 v125, 0x3ee1c552, v124
	v_sub_f32_e32 v65, v79, v83
	v_sub_f32_e32 v30, v86, v30
	v_add_f32_e32 v66, v125, v60
	v_sub_f32_e32 v81, v56, v79
	v_mul_f32_e32 v94, 0xbf08b237, v65
	v_add_f32_e32 v65, v79, v83
	v_mul_f32_e32 v79, 0x3f5ff5aa, v30
	v_fma_f32 v30, v30, s4, -v88
	v_sub_f32_e32 v88, v60, v125
	ds_read2_b32 v[125:126], v102 offset0:152 offset1:201
	v_add_f32_e32 v108, v56, v65
	v_sub_f32_e32 v58, v58, v69
	v_sub_f32_e32 v56, v83, v56
	v_mov_b32_e32 v48, v67
	v_fma_f32 v75, v75, s7, -v79
	v_fma_f32 v69, v58, s6, -v106
	v_sub_f32_e32 v24, v82, v24
	v_mul_f32_e32 v79, 0x3f5ff5aa, v56
	v_fma_f32 v58, v58, s5, -v84
	v_fmac_f32_e32 v48, 0xbf955555, v28
	v_fma_f32 v73, v24, s6, -v73
	v_fma_f32 v106, v81, s7, -v79
	v_add_f32_e32 v58, v58, v63
	v_fmac_f32_e32 v30, 0x3ee1c552, v124
	v_fma_f32 v56, v56, s4, -v94
	v_fma_f32 v24, v24, s5, -v85
	v_mov_b32_e32 v107, v94
	v_add_f32_e32 v73, v73, v48
	v_fmac_f32_e32 v106, 0x3ee1c552, v108
	v_sub_f32_e32 v82, v58, v30
	v_fmac_f32_e32 v56, 0x3ee1c552, v108
	v_add_f32_e32 v24, v24, v48
	v_add_f32_e32 v84, v30, v58
	s_waitcnt vmcnt(2)
	v_mul_f32_e32 v58, v117, v122
	v_add_f32_e32 v28, v80, v48
	v_fmac_f32_e32 v107, 0x3eae86e6, v81
	v_fmac_f32_e32 v75, 0x3ee1c552, v124
	v_add_f32_e32 v69, v69, v63
	v_sub_f32_e32 v79, v73, v106
	v_add_f32_e32 v81, v56, v24
	v_sub_f32_e32 v83, v24, v56
	v_add_f32_e32 v85, v106, v73
	s_waitcnt vmcnt(0)
	v_mul_f32_e32 v48, v93, v120
	s_waitcnt lgkmcnt(0)
	v_mul_f32_e32 v56, v91, v126
	v_fma_f32 v73, v57, v116, -v58
	v_mul_f32_e32 v58, v111, v128
	v_add_f32_e32 v80, v75, v69
	v_sub_f32_e32 v86, v69, v75
	v_fma_f32 v48, v59, v92, -v48
	v_fma_f32 v60, v52, v90, -v56
	;; [unrolled: 1-line block ×3, first 2 shown]
	v_sub_f32_e32 v56, v48, v60
	v_sub_f32_e32 v89, v73, v75
	;; [unrolled: 1-line block ×3, first 2 shown]
	ds_read2_b32 v[123:124], v87 offset0:106 offset1:155
	v_mul_f32_e32 v94, 0xbf08b237, v58
	v_mul_f32_e32 v90, v90, v126
	v_mov_b32_e32 v58, 0xfffffc8e
	v_fmac_f32_e32 v90, v52, v91
	v_mul_f32_e32 v52, v92, v120
	v_mad_u32_u24 v63, v104, 6, v58
	v_fmac_f32_e32 v52, v59, v93
	v_lshlrev_b64 v[58:59], 3, v[63:64]
	v_fmac_f32_e32 v107, 0x3ee1c552, v108
	v_sub_f32_e32 v65, v28, v107
	v_add_f32_e32 v87, v107, v28
	v_mul_f32_e32 v28, v113, v118
	v_mul_f32_e32 v118, v112, v118
	v_add_co_u32_e32 v58, vcc, s8, v58
	v_mul_f32_e32 v92, v110, v128
	s_waitcnt lgkmcnt(0)
	v_mul_f32_e32 v24, v115, v124
	v_fma_f32 v28, v61, v112, -v28
	v_fmac_f32_e32 v118, v61, v113
	v_mul_f32_e32 v61, v114, v124
	v_addc_co_u32_e32 v59, vcc, v105, v59, vcc
	v_fmac_f32_e32 v92, v50, v111
	v_mul_f32_e32 v50, v116, v122
	v_fma_f32 v24, v54, v114, -v24
	v_fmac_f32_e32 v61, v54, v115
	global_load_dwordx4 v[106:109], v[58:59], off offset:2688
	v_fmac_f32_e32 v50, v57, v117
	global_load_dwordx4 v[114:117], v[58:59], off offset:2704
	global_load_dwordx4 v[110:113], v[58:59], off offset:2720
	v_sub_f32_e32 v30, v24, v28
	v_sub_f32_e32 v69, v30, v56
	v_add_f32_e32 v56, v56, v89
	v_add_f32_e32 v121, v30, v56
	;; [unrolled: 1-line block ×4, first 2 shown]
	v_sub_f32_e32 v57, v56, v93
	v_add_f32_e32 v54, v61, v118
	v_mul_f32_e32 v120, 0x3d64c772, v57
	v_sub_f32_e32 v63, v54, v56
	v_mov_b32_e32 v57, v120
	v_mul_f32_e32 v91, 0x3f4a47b2, v63
	v_fmac_f32_e32 v57, 0x3f4a47b2, v63
	v_add_f32_e32 v63, v54, v93
	v_add_f32_e32 v56, v56, v63
	;; [unrolled: 1-line block ×3, first 2 shown]
	v_mov_b32_e32 v62, v58
	v_fmac_f32_e32 v62, 0xbf955555, v56
	v_add_f32_e32 v24, v24, v28
	v_add_f32_e32 v28, v48, v60
	;; [unrolled: 1-line block ×4, first 2 shown]
	v_sub_f32_e32 v57, v28, v73
	v_mul_f32_e32 v75, 0x3d64c772, v57
	v_sub_f32_e32 v48, v24, v28
	v_mov_b32_e32 v60, v75
	v_mul_f32_e32 v59, 0x3f4a47b2, v48
	v_fmac_f32_e32 v60, 0x3f4a47b2, v48
	v_add_f32_e32 v48, v24, v73
	v_add_f32_e32 v28, v28, v48
	;; [unrolled: 1-line block ×3, first 2 shown]
	v_sub_f32_e32 v52, v52, v90
	v_sub_f32_e32 v50, v50, v92
	v_mov_b32_e32 v48, v57
	v_sub_f32_e32 v61, v61, v118
	v_sub_f32_e32 v55, v52, v50
	;; [unrolled: 1-line block ×3, first 2 shown]
	v_fmac_f32_e32 v48, 0xbf955555, v28
	v_sub_f32_e32 v90, v61, v52
	v_mul_f32_e32 v92, 0xbf08b237, v55
	v_add_f32_e32 v52, v52, v50
	v_sub_f32_e32 v30, v89, v30
	v_fma_f32 v59, v24, s6, -v59
	v_sub_f32_e32 v50, v50, v61
	v_mov_b32_e32 v119, v94
	v_add_f32_e32 v28, v60, v48
	v_mov_b32_e32 v118, v92
	v_mul_f32_e32 v60, 0x3f5ff5aa, v30
	v_sub_f32_e32 v54, v93, v54
	v_add_f32_e32 v73, v59, v48
	v_mul_f32_e32 v59, 0x3f5ff5aa, v50
	v_fmac_f32_e32 v119, 0x3eae86e6, v69
	v_fmac_f32_e32 v118, 0x3eae86e6, v90
	v_add_f32_e32 v52, v61, v52
	v_fma_f32 v69, v69, s7, -v60
	v_fma_f32 v60, v54, s6, -v91
	v_fma_f32 v93, v90, s7, -v59
	v_fmac_f32_e32 v118, 0x3ee1c552, v52
	v_fmac_f32_e32 v69, 0x3ee1c552, v121
	v_add_f32_e32 v91, v60, v62
	v_fmac_f32_e32 v93, 0x3ee1c552, v52
	ds_read2_b32 v[128:129], v99 offset0:108 offset1:157
	ds_read2_b32 v[130:131], v98 offset0:190 offset1:239
	v_fmac_f32_e32 v119, 0x3ee1c552, v121
	v_sub_f32_e32 v55, v28, v118
	v_add_f32_e32 v60, v69, v91
	v_sub_f32_e32 v59, v73, v93
	v_fma_f32 v50, v50, s4, -v92
	v_sub_f32_e32 v92, v91, v69
	v_add_f32_e32 v91, v93, v73
	v_add_f32_e32 v93, v118, v28
	v_mov_b32_e32 v28, 0xfffffb68
	v_add_f32_e32 v56, v119, v63
	v_fma_f32 v30, v30, s4, -v94
	v_sub_f32_e32 v94, v63, v119
	v_mad_u32_u24 v63, v104, 6, v28
	ds_read2_b32 v[134:135], v103 offset0:16 offset1:65
	v_lshlrev_b64 v[118:119], 3, v[63:64]
	v_fma_f32 v24, v24, s5, -v75
	v_add_f32_e32 v24, v24, v48
	v_add_co_u32_e32 v132, vcc, s8, v118
	s_waitcnt vmcnt(0) lgkmcnt(2)
	v_mul_f32_e32 v28, v113, v129
	s_waitcnt lgkmcnt(1)
	v_mul_f32_e32 v48, v117, v131
	v_fma_f32 v54, v54, s5, -v120
	v_fmac_f32_e32 v50, 0x3ee1c552, v52
	v_addc_co_u32_e32 v133, vcc, v105, v119, vcc
	v_fma_f32 v28, v47, v112, -v28
	v_fma_f32 v63, v45, v116, -v48
	v_mul_f32_e32 v48, v115, v125
	v_mul_f32_e32 v112, v112, v129
	v_add_f32_e32 v54, v54, v62
	v_fmac_f32_e32 v30, 0x3ee1c552, v121
	v_add_f32_e32 v61, v50, v24
	v_sub_f32_e32 v89, v24, v50
	v_mul_f32_e32 v24, v107, v123
	global_load_dwordx4 v[118:121], v[132:133], off offset:2688
	v_fma_f32 v69, v51, v114, -v48
	s_waitcnt lgkmcnt(0)
	v_mul_f32_e32 v50, v109, v135
	v_fmac_f32_e32 v112, v47, v113
	v_mul_f32_e32 v47, v106, v123
	v_mul_f32_e32 v114, v114, v125
	;; [unrolled: 1-line block ×3, first 2 shown]
	v_sub_f32_e32 v62, v54, v30
	v_add_f32_e32 v90, v30, v54
	v_fma_f32 v24, v53, v106, -v24
	v_fma_f32 v75, v43, v108, -v50
	v_fmac_f32_e32 v47, v53, v107
	v_fmac_f32_e32 v114, v51, v115
	global_load_dwordx4 v[51:54], v[132:133], off offset:2720
	v_fmac_f32_e32 v123, v43, v109
	global_load_dwordx4 v[106:109], v[132:133], off offset:2704
	v_mul_f32_e32 v115, v116, v131
	v_fmac_f32_e32 v115, v45, v117
	v_mul_f32_e32 v117, v110, v127
	v_mul_f32_e32 v50, v111, v127
	v_fmac_f32_e32 v117, v49, v111
	v_fma_f32 v103, v49, v110, -v50
	v_add_f32_e32 v45, v115, v114
	v_add_f32_e32 v43, v123, v117
	v_sub_f32_e32 v30, v24, v28
	v_sub_f32_e32 v48, v63, v69
	;; [unrolled: 1-line block ×4, first 2 shown]
	ds_read2_b32 v[110:111], v17 offset0:98 offset1:147
	v_sub_f32_e32 v73, v30, v48
	v_sub_f32_e32 v50, v48, v122
	v_add_f32_e32 v48, v48, v122
	v_add_f32_e32 v113, v47, v112
	v_mul_f32_e32 v125, 0x3d64c772, v49
	v_add_f32_e32 v136, v30, v48
	v_sub_f32_e32 v48, v113, v45
	v_mov_b32_e32 v49, v125
	v_mul_f32_e32 v116, 0x3f4a47b2, v48
	v_fmac_f32_e32 v49, 0x3f4a47b2, v48
	v_add_f32_e32 v48, v113, v43
	v_add_f32_e32 v45, v45, v48
	v_mul_f32_e32 v124, 0xbf08b237, v50
	s_waitcnt lgkmcnt(0)
	v_add_f32_e32 v50, v111, v45
	v_add_f32_e32 v24, v24, v28
	;; [unrolled: 1-line block ×4, first 2 shown]
	v_mov_b32_e32 v127, v50
	v_sub_f32_e32 v75, v28, v69
	v_fmac_f32_e32 v127, 0xbf955555, v45
	v_mul_f32_e32 v75, 0x3d64c772, v75
	v_add_f32_e32 v45, v49, v127
	v_sub_f32_e32 v49, v24, v28
	v_mov_b32_e32 v103, v75
	v_mul_f32_e32 v63, 0x3f4a47b2, v49
	v_fmac_f32_e32 v103, 0x3f4a47b2, v49
	v_add_f32_e32 v49, v24, v69
	v_add_f32_e32 v28, v28, v49
	;; [unrolled: 1-line block ×3, first 2 shown]
	v_mov_b32_e32 v41, v49
	v_fmac_f32_e32 v41, 0xbf955555, v28
	v_add_f32_e32 v28, v103, v41
	v_sub_f32_e32 v103, v47, v112
	v_sub_f32_e32 v47, v115, v114
	;; [unrolled: 1-line block ×5, first 2 shown]
	v_mul_f32_e32 v115, 0xbf08b237, v112
	v_add_f32_e32 v47, v47, v114
	v_sub_f32_e32 v30, v122, v30
	v_sub_f32_e32 v24, v69, v24
	;; [unrolled: 1-line block ×3, first 2 shown]
	v_mov_b32_e32 v126, v124
	v_mov_b32_e32 v117, v115
	v_add_f32_e32 v123, v103, v47
	v_mul_f32_e32 v112, 0x3f5ff5aa, v30
	v_mul_f32_e32 v103, 0x3f5ff5aa, v69
	v_fmac_f32_e32 v126, 0x3eae86e6, v73
	v_fmac_f32_e32 v117, 0x3eae86e6, v111
	v_fma_f32 v73, v73, s7, -v112
	v_fma_f32 v103, v111, s7, -v103
	;; [unrolled: 1-line block ×4, first 2 shown]
	v_fmac_f32_e32 v126, 0x3ee1c552, v136
	v_fmac_f32_e32 v117, 0x3ee1c552, v123
	;; [unrolled: 1-line block ×6, first 2 shown]
	ds_read2_b32 v[122:123], v100 offset0:136 offset1:185
	ds_read2_b32 v[131:132], v102 offset0:54 offset1:103
	;; [unrolled: 1-line block ×3, first 2 shown]
	v_sub_f32_e32 v43, v43, v113
	v_fma_f32 v112, v43, s6, -v116
	v_fma_f32 v63, v24, s6, -v63
	;; [unrolled: 1-line block ×4, first 2 shown]
	v_add_f32_e32 v48, v126, v45
	v_add_f32_e32 v129, v112, v127
	;; [unrolled: 1-line block ×4, first 2 shown]
	v_sub_f32_e32 v127, v45, v126
	s_waitcnt vmcnt(2)
	v_mul_f32_e32 v45, v121, v134
	v_sub_f32_e32 v47, v28, v117
	v_add_f32_e32 v63, v63, v41
	v_sub_f32_e32 v114, v43, v30
	v_add_f32_e32 v113, v69, v24
	v_add_f32_e32 v116, v30, v43
	v_sub_f32_e32 v115, v24, v69
	v_add_f32_e32 v126, v117, v28
	s_waitcnt lgkmcnt(2)
	v_mul_f32_e32 v24, v119, v123
	s_waitcnt vmcnt(1)
	v_mul_f32_e32 v28, v54, v128
	s_waitcnt vmcnt(0)
	v_mul_f32_e32 v41, v109, v130
	s_waitcnt lgkmcnt(1)
	v_mul_f32_e32 v43, v107, v132
	v_fma_f32 v75, v42, v120, -v45
	s_waitcnt lgkmcnt(0)
	v_mul_f32_e32 v45, v52, v136
	v_fma_f32 v24, v39, v118, -v24
	v_fma_f32 v28, v46, v53, -v28
	;; [unrolled: 1-line block ×5, first 2 shown]
	v_add_f32_e32 v112, v73, v129
	v_sub_f32_e32 v125, v129, v73
	v_sub_f32_e32 v30, v24, v28
	;; [unrolled: 1-line block ×6, first 2 shown]
	v_add_f32_e32 v43, v43, v129
	v_mul_f32_e32 v118, v118, v123
	v_add_f32_e32 v138, v30, v43
	v_fmac_f32_e32 v118, v39, v119
	v_mul_f32_e32 v119, v106, v132
	v_mov_b32_e32 v43, 0xfffffa42
	v_sub_f32_e32 v111, v63, v103
	v_add_f32_e32 v124, v103, v63
	v_fmac_f32_e32 v119, v37, v107
	v_mul_f32_e32 v37, v108, v130
	v_mad_u32_u24 v63, v104, 6, v43
	v_fmac_f32_e32 v37, v44, v109
	v_lshlrev_b64 v[43:44], 3, v[63:64]
	v_mul_f32_e32 v128, v53, v128
	v_add_co_u32_e32 v53, vcc, s8, v43
	v_fmac_f32_e32 v128, v46, v54
	v_addc_co_u32_e32 v54, vcc, v105, v44, vcc
	v_mul_f32_e32 v133, 0xbf08b237, v45
	global_load_dwordx4 v[43:46], v[53:54], off offset:2688
	global_load_dwordx4 v[100:103], v[53:54], off offset:2720
	v_mul_f32_e32 v109, v51, v136
	v_fmac_f32_e32 v109, v35, v52
	global_load_dwordx4 v[51:54], v[53:54], off offset:2704
	v_mul_f32_e32 v35, v120, v134
	v_fmac_f32_e32 v35, v42, v121
	v_add_f32_e32 v106, v37, v119
	v_add_f32_e32 v42, v35, v109
	v_sub_f32_e32 v105, v106, v42
	v_add_f32_e32 v39, v118, v128
	v_mul_f32_e32 v120, 0x3d64c772, v105
	v_sub_f32_e32 v107, v39, v106
	v_mov_b32_e32 v105, v120
	v_mul_f32_e32 v63, 0x3f4a47b2, v107
	v_fmac_f32_e32 v105, 0x3f4a47b2, v107
	v_add_f32_e32 v107, v39, v42
	v_add_f32_e32 v107, v106, v107
	;; [unrolled: 1-line block ×3, first 2 shown]
	v_mov_b32_e32 v121, v106
	v_fmac_f32_e32 v121, 0xbf955555, v107
	v_add_f32_e32 v24, v24, v28
	v_add_f32_e32 v28, v41, v69
	;; [unrolled: 1-line block ×4, first 2 shown]
	v_sub_f32_e32 v105, v28, v75
	v_mul_f32_e32 v117, 0x3d64c772, v105
	v_sub_f32_e32 v41, v24, v28
	v_mov_b32_e32 v107, v117
	v_mul_f32_e32 v69, 0x3f4a47b2, v41
	v_fmac_f32_e32 v107, 0x3f4a47b2, v41
	v_add_f32_e32 v41, v24, v75
	v_add_f32_e32 v28, v28, v41
	v_mov_b32_e32 v137, v133
	v_add_f32_e32 v105, v40, v28
	v_fmac_f32_e32 v137, 0x3eae86e6, v73
	v_mov_b32_e32 v40, v105
	v_fmac_f32_e32 v137, 0x3ee1c552, v138
	v_fmac_f32_e32 v40, 0xbf955555, v28
	v_sub_f32_e32 v37, v37, v119
	v_sub_f32_e32 v35, v35, v109
	;; [unrolled: 1-line block ×3, first 2 shown]
	v_add_f32_e32 v108, v137, v123
	v_add_f32_e32 v28, v107, v40
	v_sub_f32_e32 v41, v118, v128
	v_sub_f32_e32 v107, v37, v35
	v_mul_f32_e32 v109, 0x3f5ff5aa, v30
	v_fma_f32 v30, v30, s4, -v133
	v_sub_f32_e32 v133, v123, v137
	ds_read2_b32 v[136:137], v99 offset0:10 offset1:59
	v_sub_f32_e32 v118, v41, v37
	v_mul_f32_e32 v119, 0xbf08b237, v107
	v_add_f32_e32 v37, v37, v35
	v_sub_f32_e32 v39, v42, v39
	v_sub_f32_e32 v24, v75, v24
	;; [unrolled: 1-line block ×3, first 2 shown]
	v_add_f32_e32 v37, v41, v37
	v_fma_f32 v42, v39, s6, -v63
	v_fma_f32 v63, v24, s6, -v69
	v_mul_f32_e32 v41, 0x3f5ff5aa, v35
	v_fma_f32 v35, v35, s4, -v119
	v_fma_f32 v24, v24, s5, -v117
	ds_read2_b32 v[98:99], v98 offset0:92 offset1:141
	v_fma_f32 v39, v39, s5, -v120
	v_fmac_f32_e32 v35, 0x3ee1c552, v37
	v_add_f32_e32 v24, v24, v40
	v_mov_b32_e32 v130, v119
	v_fma_f32 v41, v118, s7, -v41
	v_add_f32_e32 v39, v39, v121
	v_fmac_f32_e32 v30, 0x3ee1c552, v138
	v_add_f32_e32 v117, v35, v24
	v_sub_f32_e32 v119, v24, v35
	v_fmac_f32_e32 v130, 0x3eae86e6, v118
	v_fma_f32 v73, v73, s7, -v109
	v_add_f32_e32 v63, v63, v40
	v_fmac_f32_e32 v41, 0x3ee1c552, v37
	v_sub_f32_e32 v118, v39, v30
	v_add_f32_e32 v120, v30, v39
	v_fmac_f32_e32 v73, 0x3ee1c552, v138
	v_add_f32_e32 v42, v42, v121
	s_waitcnt vmcnt(2)
	v_mul_f32_e32 v24, v44, v122
	v_fma_f32 v30, v38, v43, -v24
	s_waitcnt vmcnt(1) lgkmcnt(1)
	v_mul_f32_e32 v24, v103, v137
	v_sub_f32_e32 v109, v63, v41
	v_add_f32_e32 v128, v41, v63
	v_fma_f32 v63, v33, v102, -v24
	v_mul_f32_e32 v102, v102, v137
	v_add_f32_e32 v110, v73, v42
	v_sub_f32_e32 v129, v42, v73
	global_load_dwordx4 v[39:42], v[77:78], off offset:2704
	s_waitcnt vmcnt(1) lgkmcnt(0)
	v_mul_f32_e32 v24, v54, v99
	v_fmac_f32_e32 v102, v33, v103
	v_mul_f32_e32 v33, v43, v122
	v_fma_f32 v73, v27, v53, -v24
	v_mul_f32_e32 v24, v52, v131
	v_fmac_f32_e32 v33, v38, v44
	v_mul_f32_e32 v44, v51, v131
	v_fmac_f32_e32 v130, 0x3ee1c552, v37
	v_fma_f32 v75, v36, v51, -v24
	v_fmac_f32_e32 v44, v36, v52
	global_load_dwordx4 v[35:38], v[77:78], off offset:2688
	ds_read2_b32 v[138:139], v97 offset0:174 offset1:223
	v_sub_f32_e32 v107, v28, v130
	v_add_f32_e32 v132, v130, v28
	v_mul_f32_e32 v51, v53, v99
	v_mul_f32_e32 v53, v100, v135
	s_waitcnt lgkmcnt(0)
	v_mul_f32_e32 v28, v46, v139
	v_fma_f32 v121, v23, v45, -v28
	v_mul_f32_e32 v28, v101, v135
	v_mul_f32_e32 v45, v45, v139
	v_fma_f32 v123, v34, v100, -v28
	v_fmac_f32_e32 v51, v27, v54
	v_fmac_f32_e32 v53, v34, v101
	;; [unrolled: 1-line block ×3, first 2 shown]
	v_sub_f32_e32 v69, v30, v63
	v_sub_f32_e32 v24, v73, v75
	;; [unrolled: 1-line block ×3, first 2 shown]
	v_add_f32_e32 v27, v51, v44
	v_add_f32_e32 v46, v45, v53
	v_sub_f32_e32 v97, v69, v24
	v_sub_f32_e32 v28, v24, v130
	v_add_f32_e32 v24, v24, v130
	v_sub_f32_e32 v23, v27, v46
	v_add_f32_e32 v141, v69, v24
	v_mul_f32_e32 v54, 0x3d64c772, v23
	ds_read2_b32 v[23:24], v17 offset1:49
	v_add_f32_e32 v43, v33, v102
	v_mul_f32_e32 v134, 0xbf08b237, v28
	v_sub_f32_e32 v28, v43, v27
	v_mov_b32_e32 v17, v54
	v_mul_f32_e32 v52, 0x3f4a47b2, v28
	v_fmac_f32_e32 v17, 0x3f4a47b2, v28
	v_add_f32_e32 v28, v43, v46
	v_add_f32_e32 v27, v27, v28
	s_waitcnt lgkmcnt(0)
	v_add_f32_e32 v28, v24, v27
	v_mov_b32_e32 v24, v28
	v_fmac_f32_e32 v24, 0xbf955555, v27
	v_add_f32_e32 v27, v73, v75
	v_add_f32_e32 v75, v121, v123
	v_sub_f32_e32 v77, v27, v75
	v_add_f32_e32 v30, v30, v63
	v_mul_f32_e32 v77, 0x3d64c772, v77
	v_sub_f32_e32 v63, v30, v27
	v_mov_b32_e32 v78, v77
	v_mul_f32_e32 v73, 0x3f4a47b2, v63
	v_fmac_f32_e32 v78, 0x3f4a47b2, v63
	v_add_f32_e32 v63, v30, v75
	v_add_f32_e32 v63, v27, v63
	;; [unrolled: 1-line block ×3, first 2 shown]
	v_mov_b32_e32 v21, v27
	v_fmac_f32_e32 v21, 0xbf955555, v63
	v_add_f32_e32 v63, v78, v21
	v_sub_f32_e32 v78, v33, v102
	v_sub_f32_e32 v33, v51, v44
	v_sub_f32_e32 v45, v45, v53
	v_sub_f32_e32 v46, v46, v43
	v_sub_f32_e32 v44, v33, v45
	v_fma_f32 v43, v46, s6, -v52
	v_sub_f32_e32 v30, v75, v30
	v_sub_f32_e32 v51, v78, v33
	v_mul_f32_e32 v53, 0xbf08b237, v44
	v_add_f32_e32 v33, v33, v45
	v_add_f32_e32 v101, v43, v24
	v_fma_f32 v43, v30, s6, -v73
	v_sub_f32_e32 v45, v45, v78
	v_mov_b32_e32 v99, v53
	v_sub_f32_e32 v69, v130, v69
	v_add_f32_e32 v73, v43, v21
	v_mul_f32_e32 v43, 0x3f5ff5aa, v45
	v_mov_b32_e32 v140, v134
	v_fmac_f32_e32 v99, 0x3eae86e6, v51
	v_add_f32_e32 v100, v78, v33
	v_fma_f32 v75, v51, s7, -v43
	v_fma_f32 v46, v46, s5, -v54
	v_fma_f32 v51, v69, s4, -v134
	v_fma_f32 v53, v45, s4, -v53
	v_fma_f32 v30, v30, s5, -v77
	v_fmac_f32_e32 v140, 0x3eae86e6, v97
	v_add_f32_e32 v17, v17, v24
	v_mul_f32_e32 v44, 0x3f5ff5aa, v69
	v_add_f32_e32 v24, v46, v24
	v_fmac_f32_e32 v51, 0x3ee1c552, v141
	v_fmac_f32_e32 v53, 0x3ee1c552, v100
	v_add_f32_e32 v21, v30, v21
	v_fmac_f32_e32 v140, 0x3ee1c552, v141
	v_fmac_f32_e32 v99, 0x3ee1c552, v100
	v_fma_f32 v97, v97, s7, -v44
	v_sub_f32_e32 v46, v24, v51
	v_add_f32_e32 v45, v53, v21
	v_add_f32_e32 v52, v51, v24
	v_sub_f32_e32 v51, v21, v53
	v_mul_f32_e32 v21, v15, v136
	v_add_f32_e32 v34, v140, v17
	v_sub_f32_e32 v33, v63, v99
	v_fmac_f32_e32 v97, 0x3ee1c552, v141
	v_sub_f32_e32 v78, v17, v140
	v_add_f32_e32 v77, v99, v63
	s_waitcnt vmcnt(0)
	v_mul_f32_e32 v17, v36, v76
	v_fma_f32 v21, v32, v14, -v21
	v_mul_f32_e32 v63, v40, v74
	v_mul_f32_e32 v14, v14, v136
	v_add_f32_e32 v44, v97, v101
	v_sub_f32_e32 v54, v101, v97
	v_fma_f32 v17, v31, v35, -v17
	v_fma_f32 v63, v29, v39, -v63
	v_mul_f32_e32 v97, v13, v72
	v_fmac_f32_e32 v14, v32, v15
	v_mul_f32_e32 v32, v35, v76
	v_mul_f32_e32 v35, v39, v74
	;; [unrolled: 1-line block ×3, first 2 shown]
	v_fmac_f32_e32 v75, 0x3ee1c552, v100
	v_fma_f32 v97, v25, v12, -v97
	v_fmac_f32_e32 v39, v25, v13
	v_mul_f32_e32 v25, v37, v138
	v_sub_f32_e32 v43, v73, v75
	v_add_f32_e32 v53, v75, v73
	v_mul_f32_e32 v75, v38, v138
	v_fmac_f32_e32 v32, v31, v36
	v_fmac_f32_e32 v35, v29, v40
	v_mul_f32_e32 v29, v41, v98
	v_fmac_f32_e32 v25, v22, v38
	v_fma_f32 v75, v22, v37, -v75
	v_add_f32_e32 v31, v32, v14
	v_fmac_f32_e32 v29, v26, v42
	v_add_f32_e32 v22, v25, v39
	v_mul_f32_e32 v30, v42, v98
	v_add_f32_e32 v15, v29, v35
	v_add_f32_e32 v13, v31, v22
	v_fma_f32 v30, v26, v41, -v30
	v_sub_f32_e32 v26, v31, v15
	v_sub_f32_e32 v12, v15, v22
	v_add_f32_e32 v15, v15, v13
	v_mul_f32_e32 v37, 0x3d64c772, v12
	v_add_f32_e32 v13, v23, v15
	v_mov_b32_e32 v12, v37
	v_mov_b32_e32 v23, v13
	v_fmac_f32_e32 v12, 0x3f4a47b2, v26
	v_fmac_f32_e32 v23, 0xbf955555, v15
	v_mul_f32_e32 v36, 0x3f4a47b2, v26
	v_add_f32_e32 v26, v12, v23
	v_add_f32_e32 v12, v30, v63
	;; [unrolled: 1-line block ×3, first 2 shown]
	v_sub_f32_e32 v40, v12, v38
	v_sub_f32_e32 v24, v17, v21
	v_add_f32_e32 v17, v17, v21
	v_mul_f32_e32 v40, 0x3d64c772, v40
	v_sub_f32_e32 v21, v17, v12
	v_mov_b32_e32 v41, v40
	v_sub_f32_e32 v69, v30, v63
	v_mul_f32_e32 v30, 0x3f4a47b2, v21
	v_fmac_f32_e32 v41, 0x3f4a47b2, v21
	v_add_f32_e32 v21, v17, v38
	v_add_f32_e32 v21, v12, v21
	v_sub_f32_e32 v99, v75, v97
	v_add_f32_e32 v12, v20, v21
	v_sub_f32_e32 v73, v24, v69
	v_sub_f32_e32 v100, v69, v99
	v_add_f32_e32 v69, v69, v99
	v_mov_b32_e32 v42, v12
	v_sub_f32_e32 v20, v32, v14
	v_sub_f32_e32 v14, v29, v35
	;; [unrolled: 1-line block ×3, first 2 shown]
	v_add_f32_e32 v69, v24, v69
	v_fmac_f32_e32 v42, 0xbf955555, v21
	v_sub_f32_e32 v21, v14, v25
	v_sub_f32_e32 v24, v99, v24
	v_mul_f32_e32 v100, 0xbf08b237, v100
	v_sub_f32_e32 v29, v20, v14
	v_mul_f32_e32 v32, 0xbf08b237, v21
	v_add_f32_e32 v14, v14, v25
	v_mul_f32_e32 v21, 0x3f5ff5aa, v24
	v_sub_f32_e32 v22, v22, v31
	v_sub_f32_e32 v17, v38, v17
	;; [unrolled: 1-line block ×3, first 2 shown]
	v_mov_b32_e32 v101, v100
	v_mov_b32_e32 v35, v32
	v_add_f32_e32 v39, v20, v14
	v_fma_f32 v63, v73, s7, -v21
	v_fma_f32 v21, v22, s6, -v36
	v_fma_f32 v30, v17, s6, -v30
	v_fma_f32 v22, v22, s5, -v37
	v_fma_f32 v24, v24, s4, -v100
	v_fma_f32 v32, v25, s4, -v32
	v_fma_f32 v17, v17, s5, -v40
	v_fmac_f32_e32 v101, 0x3eae86e6, v73
	v_add_f32_e32 v36, v30, v42
	v_add_f32_e32 v30, v22, v23
	v_fmac_f32_e32 v24, 0x3ee1c552, v69
	v_fmac_f32_e32 v32, 0x3ee1c552, v39
	v_add_f32_e32 v17, v17, v42
	v_fmac_f32_e32 v101, 0x3ee1c552, v69
	v_add_f32_e32 v31, v21, v23
	v_mul_f32_e32 v20, 0x3f5ff5aa, v25
	v_sub_f32_e32 v23, v30, v24
	v_add_f32_e32 v22, v32, v17
	v_add_f32_e32 v25, v24, v30
	v_sub_f32_e32 v24, v17, v32
	v_mov_b32_e32 v17, v64
	v_add_f32_e32 v15, v101, v26
	v_sub_f32_e32 v32, v26, v101
	v_mov_b32_e32 v26, s3
	v_add_co_u32_e32 v18, vcc, s2, v18
	v_lshlrev_b64 v[16:17], 3, v[16:17]
	v_addc_co_u32_e32 v19, vcc, v26, v19, vcc
	v_fmac_f32_e32 v35, 0x3eae86e6, v29
	v_add_co_u32_e32 v16, vcc, v18, v16
	v_add_f32_e32 v41, v41, v42
	v_fmac_f32_e32 v35, 0x3ee1c552, v39
	v_fmac_f32_e32 v63, 0x3ee1c552, v69
	v_addc_co_u32_e32 v17, vcc, v19, v17, vcc
	v_add_f32_e32 v21, v63, v31
	v_sub_f32_e32 v30, v31, v63
	v_add_f32_e32 v31, v35, v41
	global_store_dwordx2 v[16:17], v[12:13], off
	global_store_dwordx2 v[16:17], v[31:32], off offset:2744
	v_add_co_u32_e32 v12, vcc, s11, v16
	v_fma_f32 v29, v29, s7, -v20
	v_addc_co_u32_e32 v13, vcc, 0, v17, vcc
	v_fmac_f32_e32 v29, 0x3ee1c552, v39
	v_add_co_u32_e32 v18, vcc, s10, v16
	v_sub_f32_e32 v20, v36, v29
	v_add_f32_e32 v29, v29, v36
	v_addc_co_u32_e32 v19, vcc, 0, v17, vcc
	global_store_dwordx2 v[12:13], v[29:30], off offset:1392
	global_store_dwordx2 v[18:19], v[24:25], off offset:40
	global_store_dwordx2 v[18:19], v[22:23], off offset:2784
	v_add_co_u32_e32 v22, vcc, s0, v16
	v_addc_co_u32_e32 v23, vcc, 0, v17, vcc
	global_store_dwordx2 v[22:23], v[20:21], off offset:1432
	v_add_co_u32_e32 v20, vcc, s1, v16
	v_sub_f32_e32 v14, v41, v35
	v_addc_co_u32_e32 v21, vcc, 0, v17, vcc
	s_mov_b32 s2, 0xbf112a8b
	global_store_dwordx2 v[20:21], v[14:15], off offset:80
	global_store_dwordx2 v[16:17], v[27:28], off offset:392
	;; [unrolled: 1-line block ×19, first 2 shown]
	v_mul_hi_u32 v12, v96, s2
	s_movk_i32 s3, 0x620
	global_store_dwordx2 v[18:19], v[113:114], off offset:3960
	global_store_dwordx2 v[22:23], v[111:112], off offset:2608
	;; [unrolled: 1-line block ×3, first 2 shown]
	v_lshrrev_b32_e32 v12, 8, v12
	v_mul_u32_u24_e32 v63, 0x80a, v12
	v_lshlrev_b64 v[12:13], 3, v[63:64]
	v_add_co_u32_e32 v12, vcc, v16, v12
	v_addc_co_u32_e32 v13, vcc, v17, v13, vcc
	v_add_co_u32_e32 v14, vcc, s3, v12
	v_addc_co_u32_e32 v15, vcc, 0, v13, vcc
	global_store_dwordx2 v[12:13], v[57:58], off offset:1568
	global_store_dwordx2 v[14:15], v[93:94], off offset:2744
	v_add_co_u32_e32 v14, vcc, s11, v12
	v_addc_co_u32_e32 v15, vcc, 0, v13, vcc
	global_store_dwordx2 v[14:15], v[91:92], off offset:2960
	v_add_co_u32_e32 v14, vcc, s10, v12
	v_addc_co_u32_e32 v15, vcc, 0, v13, vcc
	;; [unrolled: 3-line block ×3, first 2 shown]
	global_store_dwordx2 v[14:15], v[61:62], off offset:256
	global_store_dwordx2 v[14:15], v[59:60], off offset:3000
	v_mul_hi_u32 v14, v95, s2
	v_add_co_u32_e32 v12, vcc, s1, v12
	v_addc_co_u32_e32 v13, vcc, 0, v13, vcc
	global_store_dwordx2 v[12:13], v[55:56], off offset:1648
	v_lshrrev_b32_e32 v12, 8, v14
	v_mul_u32_u24_e32 v63, 0x80a, v12
	v_lshlrev_b64 v[12:13], 3, v[63:64]
	s_movk_i32 s3, 0x7a8
	v_add_co_u32_e32 v12, vcc, v16, v12
	v_addc_co_u32_e32 v13, vcc, v17, v13, vcc
	v_add_co_u32_e32 v14, vcc, s3, v12
	v_addc_co_u32_e32 v15, vcc, 0, v13, vcc
	global_store_dwordx2 v[12:13], v[67:68], off offset:1960
	global_store_dwordx2 v[14:15], v[87:88], off offset:2744
	v_add_co_u32_e32 v14, vcc, s11, v12
	v_addc_co_u32_e32 v15, vcc, 0, v13, vcc
	global_store_dwordx2 v[14:15], v[85:86], off offset:3352
	v_add_co_u32_e32 v14, vcc, s10, v12
	v_addc_co_u32_e32 v15, vcc, 0, v13, vcc
	;; [unrolled: 3-line block ×3, first 2 shown]
	global_store_dwordx2 v[14:15], v[81:82], off offset:648
	global_store_dwordx2 v[14:15], v[79:80], off offset:3392
	v_mul_hi_u32 v14, v104, s2
	v_add_co_u32_e32 v12, vcc, s1, v12
	v_addc_co_u32_e32 v13, vcc, 0, v13, vcc
	global_store_dwordx2 v[12:13], v[65:66], off offset:2040
	v_lshrrev_b32_e32 v12, 8, v14
	v_mul_u32_u24_e32 v63, 0x80a, v12
	v_lshlrev_b64 v[12:13], 3, v[63:64]
	s_movk_i32 s0, 0x930
	v_add_co_u32_e32 v12, vcc, v16, v12
	v_addc_co_u32_e32 v13, vcc, v17, v13, vcc
	v_add_co_u32_e32 v14, vcc, s0, v12
	v_addc_co_u32_e32 v15, vcc, 0, v13, vcc
	global_store_dwordx2 v[12:13], v[2:3], off offset:2352
	global_store_dwordx2 v[14:15], v[70:71], off offset:2744
	v_add_co_u32_e32 v2, vcc, s11, v12
	v_addc_co_u32_e32 v3, vcc, 0, v13, vcc
	global_store_dwordx2 v[2:3], v[10:11], off offset:3744
	v_add_co_u32_e32 v2, vcc, s10, v12
	v_addc_co_u32_e32 v3, vcc, 0, v13, vcc
	;; [unrolled: 3-line block ×3, first 2 shown]
	global_store_dwordx2 v[2:3], v[6:7], off offset:1040
	global_store_dwordx2 v[2:3], v[4:5], off offset:3784
	v_add_co_u32_e32 v2, vcc, 0x4000, v12
	v_addc_co_u32_e32 v3, vcc, 0, v13, vcc
	global_store_dwordx2 v[2:3], v[0:1], off offset:2432
.LBB0_13:
	s_endpgm
	.section	.rodata,"a",@progbits
	.p2align	6, 0x0
	.amdhsa_kernel fft_rtc_fwd_len2401_factors_7_7_7_7_wgs_49_tpt_49_halfLds_sp_ip_CI_unitstride_sbrr_dirReg
		.amdhsa_group_segment_fixed_size 0
		.amdhsa_private_segment_fixed_size 0
		.amdhsa_kernarg_size 88
		.amdhsa_user_sgpr_count 6
		.amdhsa_user_sgpr_private_segment_buffer 1
		.amdhsa_user_sgpr_dispatch_ptr 0
		.amdhsa_user_sgpr_queue_ptr 0
		.amdhsa_user_sgpr_kernarg_segment_ptr 1
		.amdhsa_user_sgpr_dispatch_id 0
		.amdhsa_user_sgpr_flat_scratch_init 0
		.amdhsa_user_sgpr_private_segment_size 0
		.amdhsa_uses_dynamic_stack 0
		.amdhsa_system_sgpr_private_segment_wavefront_offset 0
		.amdhsa_system_sgpr_workgroup_id_x 1
		.amdhsa_system_sgpr_workgroup_id_y 0
		.amdhsa_system_sgpr_workgroup_id_z 0
		.amdhsa_system_sgpr_workgroup_info 0
		.amdhsa_system_vgpr_workitem_id 0
		.amdhsa_next_free_vgpr 180
		.amdhsa_next_free_sgpr 22
		.amdhsa_reserve_vcc 1
		.amdhsa_reserve_flat_scratch 0
		.amdhsa_float_round_mode_32 0
		.amdhsa_float_round_mode_16_64 0
		.amdhsa_float_denorm_mode_32 3
		.amdhsa_float_denorm_mode_16_64 3
		.amdhsa_dx10_clamp 1
		.amdhsa_ieee_mode 1
		.amdhsa_fp16_overflow 0
		.amdhsa_exception_fp_ieee_invalid_op 0
		.amdhsa_exception_fp_denorm_src 0
		.amdhsa_exception_fp_ieee_div_zero 0
		.amdhsa_exception_fp_ieee_overflow 0
		.amdhsa_exception_fp_ieee_underflow 0
		.amdhsa_exception_fp_ieee_inexact 0
		.amdhsa_exception_int_div_zero 0
	.end_amdhsa_kernel
	.text
.Lfunc_end0:
	.size	fft_rtc_fwd_len2401_factors_7_7_7_7_wgs_49_tpt_49_halfLds_sp_ip_CI_unitstride_sbrr_dirReg, .Lfunc_end0-fft_rtc_fwd_len2401_factors_7_7_7_7_wgs_49_tpt_49_halfLds_sp_ip_CI_unitstride_sbrr_dirReg
                                        ; -- End function
	.section	.AMDGPU.csdata,"",@progbits
; Kernel info:
; codeLenInByte = 22528
; NumSgprs: 26
; NumVgprs: 180
; ScratchSize: 0
; MemoryBound: 0
; FloatMode: 240
; IeeeMode: 1
; LDSByteSize: 0 bytes/workgroup (compile time only)
; SGPRBlocks: 3
; VGPRBlocks: 44
; NumSGPRsForWavesPerEU: 26
; NumVGPRsForWavesPerEU: 180
; Occupancy: 1
; WaveLimiterHint : 1
; COMPUTE_PGM_RSRC2:SCRATCH_EN: 0
; COMPUTE_PGM_RSRC2:USER_SGPR: 6
; COMPUTE_PGM_RSRC2:TRAP_HANDLER: 0
; COMPUTE_PGM_RSRC2:TGID_X_EN: 1
; COMPUTE_PGM_RSRC2:TGID_Y_EN: 0
; COMPUTE_PGM_RSRC2:TGID_Z_EN: 0
; COMPUTE_PGM_RSRC2:TIDIG_COMP_CNT: 0
	.type	__hip_cuid_1ac51a8af15051b3,@object ; @__hip_cuid_1ac51a8af15051b3
	.section	.bss,"aw",@nobits
	.globl	__hip_cuid_1ac51a8af15051b3
__hip_cuid_1ac51a8af15051b3:
	.byte	0                               ; 0x0
	.size	__hip_cuid_1ac51a8af15051b3, 1

	.ident	"AMD clang version 19.0.0git (https://github.com/RadeonOpenCompute/llvm-project roc-6.4.0 25133 c7fe45cf4b819c5991fe208aaa96edf142730f1d)"
	.section	".note.GNU-stack","",@progbits
	.addrsig
	.addrsig_sym __hip_cuid_1ac51a8af15051b3
	.amdgpu_metadata
---
amdhsa.kernels:
  - .args:
      - .actual_access:  read_only
        .address_space:  global
        .offset:         0
        .size:           8
        .value_kind:     global_buffer
      - .offset:         8
        .size:           8
        .value_kind:     by_value
      - .actual_access:  read_only
        .address_space:  global
        .offset:         16
        .size:           8
        .value_kind:     global_buffer
      - .actual_access:  read_only
        .address_space:  global
        .offset:         24
        .size:           8
        .value_kind:     global_buffer
      - .offset:         32
        .size:           8
        .value_kind:     by_value
      - .actual_access:  read_only
        .address_space:  global
        .offset:         40
        .size:           8
        .value_kind:     global_buffer
      - .actual_access:  read_only
        .address_space:  global
        .offset:         48
        .size:           8
        .value_kind:     global_buffer
      - .offset:         56
        .size:           4
        .value_kind:     by_value
      - .actual_access:  read_only
        .address_space:  global
        .offset:         64
        .size:           8
        .value_kind:     global_buffer
      - .actual_access:  read_only
        .address_space:  global
        .offset:         72
        .size:           8
        .value_kind:     global_buffer
      - .address_space:  global
        .offset:         80
        .size:           8
        .value_kind:     global_buffer
    .group_segment_fixed_size: 0
    .kernarg_segment_align: 8
    .kernarg_segment_size: 88
    .language:       OpenCL C
    .language_version:
      - 2
      - 0
    .max_flat_workgroup_size: 49
    .name:           fft_rtc_fwd_len2401_factors_7_7_7_7_wgs_49_tpt_49_halfLds_sp_ip_CI_unitstride_sbrr_dirReg
    .private_segment_fixed_size: 0
    .sgpr_count:     26
    .sgpr_spill_count: 0
    .symbol:         fft_rtc_fwd_len2401_factors_7_7_7_7_wgs_49_tpt_49_halfLds_sp_ip_CI_unitstride_sbrr_dirReg.kd
    .uniform_work_group_size: 1
    .uses_dynamic_stack: false
    .vgpr_count:     180
    .vgpr_spill_count: 0
    .wavefront_size: 64
amdhsa.target:   amdgcn-amd-amdhsa--gfx906
amdhsa.version:
  - 1
  - 2
...

	.end_amdgpu_metadata
